;; amdgpu-corpus repo=ROCm/rocFFT kind=compiled arch=gfx1030 opt=O3
	.text
	.amdgcn_target "amdgcn-amd-amdhsa--gfx1030"
	.amdhsa_code_object_version 6
	.protected	bluestein_single_back_len2160_dim1_dp_op_CI_CI ; -- Begin function bluestein_single_back_len2160_dim1_dp_op_CI_CI
	.globl	bluestein_single_back_len2160_dim1_dp_op_CI_CI
	.p2align	8
	.type	bluestein_single_back_len2160_dim1_dp_op_CI_CI,@function
bluestein_single_back_len2160_dim1_dp_op_CI_CI: ; @bluestein_single_back_len2160_dim1_dp_op_CI_CI
; %bb.0:
	s_load_dwordx4 s[8:11], s[4:5], 0x28
	v_mul_u32_u24_e32 v1, 0x445, v0
	s_mov_b64 s[26:27], s[2:3]
	s_mov_b64 s[24:25], s[0:1]
	v_mov_b32_e32 v8, 0
	s_add_u32 s24, s24, s7
	v_lshrrev_b32_e32 v1, 16, v1
	s_addc_u32 s25, s25, 0
	s_mov_b32 s0, exec_lo
	v_add_nc_u32_e32 v7, s6, v1
	s_waitcnt lgkmcnt(0)
	v_cmpx_gt_u64_e64 s[8:9], v[7:8]
	s_cbranch_execz .LBB0_15
; %bb.1:
	s_clause 0x1
	s_load_dwordx4 s[0:3], s[4:5], 0x18
	s_load_dwordx2 s[16:17], s[4:5], 0x0
	v_mul_lo_u16 v1, v1, 60
	v_mov_b32_e32 v8, v7
	v_sub_nc_u16 v2, v0, v1
	v_and_b32_e32 v9, 0xffff, v2
	v_lshlrev_b32_e32 v238, 4, v9
	v_or_b32_e32 v37, 0x6c0, v9
	v_or_b32_e32 v45, 0x300, v9
	s_waitcnt lgkmcnt(0)
	s_load_dwordx4 s[12:15], s[0:1], 0x0
	v_add_co_u32 v127, s0, s16, v238
	v_add_co_ci_u32_e64 v128, null, s17, 0, s0
	global_load_dwordx4 v[225:228], v238, s[16:17]
	v_add_co_u32 v12, vcc_lo, 0x800, v127
	v_add_co_ci_u32_e32 v13, vcc_lo, 0, v128, vcc_lo
	v_add_co_u32 v61, vcc_lo, 0x1800, v127
	buffer_store_dword v12, off, s[24:27], 0 offset:136 ; 4-byte Folded Spill
	buffer_store_dword v13, off, s[24:27], 0 offset:140 ; 4-byte Folded Spill
	v_add_co_ci_u32_e32 v62, vcc_lo, 0, v128, vcc_lo
	v_add_co_u32 v0, vcc_lo, 0x2800, v127
	v_add_co_ci_u32_e32 v1, vcc_lo, 0, v128, vcc_lo
	v_add_co_u32 v10, vcc_lo, 0x3000, v127
	v_add_co_ci_u32_e32 v11, vcc_lo, 0, v128, vcc_lo
	s_waitcnt lgkmcnt(0)
	v_mad_u64_u32 v[5:6], null, s12, v9, 0
	v_mad_u64_u32 v[3:4], null, s14, v7, 0
	v_add_co_u32 v71, vcc_lo, 0x4000, v127
	v_add_co_ci_u32_e32 v72, vcc_lo, 0, v128, vcc_lo
	v_add_co_u32 v75, vcc_lo, 0x5000, v127
	v_add_co_ci_u32_e32 v76, vcc_lo, 0, v128, vcc_lo
	s_mul_i32 s1, s13, 0xd8
	s_mul_hi_u32 s6, s12, 0xd8
	s_mul_i32 s0, s12, 0xd8
	s_add_i32 s1, s6, s1
	v_mad_u64_u32 v[31:32], null, s12, v37, 0
	v_mad_u64_u32 v[33:34], null, s12, v45, 0
	s_mul_i32 s6, s13, 0x1b00
	v_lshlrev_b32_e32 v46, 4, v37
	s_clause 0x2
	global_load_dwordx4 v[213:216], v[12:13], off offset:1408
	global_load_dwordx4 v[205:208], v[61:62], off offset:768
	;; [unrolled: 1-line block ×3, first 2 shown]
	buffer_store_dword v8, off, s[24:27], 0 offset:68 ; 4-byte Folded Spill
	buffer_store_dword v9, off, s[24:27], 0 offset:72 ; 4-byte Folded Spill
	;; [unrolled: 1-line block ×4, first 2 shown]
	v_mad_u64_u32 v[7:8], null, s15, v7, v[4:5]
	s_lshl_b64 s[14:15], s[0:1], 4
	s_mul_hi_u32 s0, s12, 0xfffff8a4
	s_mul_i32 s1, s13, 0xfffff8a4
	s_sub_i32 s0, s0, s12
	s_clause 0x1
	global_load_dwordx4 v[169:172], v[10:11], off offset:1536
	global_load_dwordx4 v[161:164], v[71:72], off offset:896
	buffer_store_dword v9, off, s[24:27], 0 ; 4-byte Folded Spill
	v_mad_u64_u32 v[8:9], null, s13, v9, v[6:7]
	v_mov_b32_e32 v4, v7
	global_load_dwordx4 v[165:168], v[75:76], off offset:256
	s_add_i32 s1, s0, s1
	s_mul_i32 s0, s12, 0xfffff8a4
	v_lshlrev_b64 v[3:4], 4, v[3:4]
	v_mov_b32_e32 v6, v8
	s_lshl_b64 s[0:1], s[0:1], 4
	v_lshlrev_b64 v[5:6], 4, v[5:6]
	v_add_co_u32 v43, vcc_lo, s10, v3
	v_add_co_ci_u32_e32 v44, vcc_lo, s11, v4, vcc_lo
	v_add_co_u32 v3, vcc_lo, v43, v5
	v_add_co_ci_u32_e32 v4, vcc_lo, v44, v6, vcc_lo
	v_mov_b32_e32 v5, v32
	v_add_co_u32 v7, vcc_lo, v3, s14
	v_add_co_ci_u32_e32 v8, vcc_lo, s15, v4, vcc_lo
	v_mov_b32_e32 v6, v34
	v_add_co_u32 v11, vcc_lo, v7, s14
	v_add_co_ci_u32_e32 v12, vcc_lo, s15, v8, vcc_lo
	v_mad_u64_u32 v[9:10], null, s13, v37, v[5:6]
	v_add_co_u32 v15, vcc_lo, v11, s14
	v_add_co_ci_u32_e32 v16, vcc_lo, s15, v12, vcc_lo
	v_mad_u64_u32 v[34:35], null, s13, v45, v[6:7]
	v_add_co_u32 v19, vcc_lo, v15, s14
	v_add_co_ci_u32_e32 v20, vcc_lo, s15, v16, vcc_lo
	v_mov_b32_e32 v32, v9
	v_add_co_u32 v23, vcc_lo, v19, s14
	v_add_co_ci_u32_e32 v24, vcc_lo, s15, v20, vcc_lo
	v_lshlrev_b64 v[31:32], 4, v[31:32]
	v_add_co_u32 v35, vcc_lo, v23, s14
	v_add_co_ci_u32_e32 v36, vcc_lo, s15, v24, vcc_lo
	v_lshlrev_b64 v[41:42], 4, v[33:34]
	v_add_co_u32 v39, vcc_lo, v35, s14
	v_add_co_ci_u32_e32 v40, vcc_lo, s15, v36, vcc_lo
	v_add_co_u32 v119, vcc_lo, 0x5800, v127
	v_add_co_ci_u32_e32 v120, vcc_lo, 0, v128, vcc_lo
	s_clause 0x4
	global_load_dwordx4 v[3:6], v[3:4], off
	global_load_dwordx4 v[7:10], v[7:8], off
	global_load_dwordx4 v[11:14], v[11:12], off
	global_load_dwordx4 v[15:18], v[15:16], off
	global_load_dwordx4 v[19:22], v[19:20], off
	global_load_dwordx4 v[23:26], v[23:24], off
	global_load_dwordx4 v[27:30], v[35:36], off
	v_add_co_u32 v35, vcc_lo, v43, v31
	v_add_co_ci_u32_e32 v36, vcc_lo, v44, v32, vcc_lo
	v_add_co_u32 v41, vcc_lo, v43, v41
	v_add_co_ci_u32_e32 v42, vcc_lo, v44, v42, vcc_lo
	v_mad_u64_u32 v[43:44], null, 0x1b00, s12, v[39:40]
	buffer_store_dword v37, off, s[24:27], 0 offset:116 ; 4-byte Folded Spill
	global_load_dwordx4 v[31:34], v[39:40], off
	global_load_dwordx4 v[209:212], v[119:120], off offset:1664
	global_load_dwordx4 v[35:38], v[35:36], off
	buffer_store_dword v45, off, s[24:27], 0 offset:160 ; 4-byte Folded Spill
	v_lshlrev_b32_e32 v45, 4, v45
	buffer_store_dword v46, off, s[24:27], 0 offset:1448 ; 4-byte Folded Spill
	global_load_dwordx4 v[197:200], v46, s[16:17]
	v_add_nc_u32_e32 v44, s6, v44
	v_add_co_u32 v47, vcc_lo, v43, s0
	global_load_dwordx4 v[133:136], v45, s[16:17]
	buffer_store_dword v45, off, s[24:27], 0 offset:1156 ; 4-byte Folded Spill
	v_add_co_ci_u32_e32 v48, vcc_lo, s1, v44, vcc_lo
	v_add_co_u32 v87, vcc_lo, 0x7800, v127
	v_add_co_ci_u32_e32 v88, vcc_lo, 0, v128, vcc_lo
	v_add_co_u32 v55, vcc_lo, v47, s14
	v_add_co_ci_u32_e32 v56, vcc_lo, s15, v48, vcc_lo
	global_load_dwordx4 v[39:42], v[41:42], off
	global_load_dwordx4 v[43:46], v[43:44], off
	global_load_dwordx4 v[221:224], v[87:88], off offset:384
	global_load_dwordx4 v[47:50], v[47:48], off
	global_load_dwordx4 v[217:220], v238, s[16:17] offset:960
	global_load_dwordx4 v[51:54], v[55:56], off
	v_add_co_u32 v55, vcc_lo, v55, s14
	v_add_co_ci_u32_e32 v56, vcc_lo, s15, v56, vcc_lo
	v_add_co_u32 v91, vcc_lo, 0x1000, v127
	v_add_co_ci_u32_e32 v92, vcc_lo, 0, v128, vcc_lo
	;; [unrolled: 2-line block ×3, first 2 shown]
	global_load_dwordx4 v[193:196], v[91:92], off offset:320
	global_load_dwordx4 v[55:58], v[55:56], off
	buffer_store_dword v61, off, s[24:27], 0 offset:92 ; 4-byte Folded Spill
	buffer_store_dword v62, off, s[24:27], 0 offset:96 ; 4-byte Folded Spill
	v_add_co_u32 v67, vcc_lo, v59, s14
	v_add_co_ci_u32_e32 v68, vcc_lo, s15, v60, vcc_lo
	global_load_dwordx4 v[189:192], v[61:62], off offset:1728
	global_load_dwordx4 v[59:62], v[59:60], off
	global_load_dwordx4 v[177:180], v[0:1], off offset:1088
	global_load_dwordx4 v[63:66], v[67:68], off
	v_add_co_u32 v0, vcc_lo, v67, s14
	v_add_co_ci_u32_e32 v1, vcc_lo, s15, v68, vcc_lo
	v_add_co_u32 v95, vcc_lo, 0x3800, v127
	v_add_co_ci_u32_e32 v96, vcc_lo, 0, v128, vcc_lo
	global_load_dwordx4 v[181:184], v[95:96], off offset:448
	global_load_dwordx4 v[67:70], v[0:1], off
	buffer_store_dword v71, off, s[24:27], 0 offset:76 ; 4-byte Folded Spill
	buffer_store_dword v72, off, s[24:27], 0 offset:80 ; 4-byte Folded Spill
	v_add_co_u32 v77, vcc_lo, v0, s14
	v_add_co_ci_u32_e32 v78, vcc_lo, s15, v1, vcc_lo
	s_waitcnt vmcnt(25)
	v_mul_f64 v[99:100], v[5:6], v[227:228]
	v_add_co_u32 v0, vcc_lo, v77, s14
	v_add_co_ci_u32_e32 v1, vcc_lo, s15, v78, vcc_lo
	v_add_co_u32 v97, vcc_lo, 0x6000, v127
	v_add_co_ci_u32_e32 v98, vcc_lo, 0, v128, vcc_lo
	s_waitcnt vmcnt(15)
	v_mul_f64 v[103:104], v[37:38], v[199:200]
	s_waitcnt vmcnt(13)
	v_mul_f64 v[107:108], v[41:42], v[135:136]
	v_mul_f64 v[111:112], v[9:10], v[215:216]
	;; [unrolled: 1-line block ×11, first 2 shown]
	global_load_dwordx4 v[185:188], v[71:72], off offset:1856
	global_load_dwordx4 v[71:74], v[77:78], off
	global_load_dwordx4 v[149:152], v[75:76], off offset:1216
	global_load_dwordx4 v[75:78], v[0:1], off
	global_load_dwordx4 v[141:144], v[97:98], off offset:576
	v_add_co_u32 v0, vcc_lo, v0, s14
	v_add_co_ci_u32_e32 v1, vcc_lo, s15, v1, vcc_lo
	v_add_co_u32 v83, vcc_lo, 0x6800, v127
	v_add_co_ci_u32_e32 v84, vcc_lo, 0, v128, vcc_lo
	global_load_dwordx4 v[79:82], v[0:1], off
	buffer_store_dword v83, off, s[24:27], 0 offset:108 ; 4-byte Folded Spill
	buffer_store_dword v84, off, s[24:27], 0 offset:112 ; 4-byte Folded Spill
	v_add_co_u32 v0, vcc_lo, v0, s14
	v_add_co_ci_u32_e32 v1, vcc_lo, s15, v1, vcc_lo
	v_fma_f64 v[3:4], v[3:4], v[225:226], v[99:100]
	v_fma_f64 v[35:36], v[35:36], v[197:198], v[103:104]
	v_fma_f64 v[39:40], v[39:40], v[133:134], v[107:108]
	v_fma_f64 v[7:8], v[7:8], v[213:214], v[111:112]
	v_fma_f64 v[11:12], v[11:12], v[205:206], v[115:116]
	v_fma_f64 v[19:20], v[19:20], v[169:170], v[123:124]
	v_mul_f64 v[99:100], v[25:26], v[163:164]
	v_mul_f64 v[103:104], v[29:30], v[167:168]
	;; [unrolled: 1-line block ×3, first 2 shown]
	s_waitcnt vmcnt(17)
	v_mul_f64 v[111:112], v[45:46], v[223:224]
	s_waitcnt vmcnt(15)
	v_mul_f64 v[115:116], v[49:50], v[219:220]
	global_load_dwordx4 v[145:148], v[83:84], off offset:1984
	global_load_dwordx4 v[83:86], v[0:1], off
	global_load_dwordx4 v[153:156], v[87:88], off offset:1344
	v_add_co_u32 v0, vcc_lo, v0, s0
	v_add_co_ci_u32_e32 v1, vcc_lo, s1, v1, vcc_lo
	global_load_dwordx4 v[87:90], v[0:1], off
	global_load_dwordx4 v[157:160], v238, s[16:17] offset:1920
	v_add_co_u32 v0, vcc_lo, v0, s14
	v_add_co_ci_u32_e32 v1, vcc_lo, s15, v1, vcc_lo
	global_load_dwordx4 v[137:140], v[91:92], off offset:1280
	global_load_dwordx4 v[91:94], v[0:1], off
	buffer_store_dword v119, off, s[24:27], 0 offset:100 ; 4-byte Folded Spill
	buffer_store_dword v120, off, s[24:27], 0 offset:104 ; 4-byte Folded Spill
	v_add_co_u32 v129, vcc_lo, 0x2000, v127
	v_add_co_ci_u32_e32 v130, vcc_lo, 0, v128, vcc_lo
	v_add_co_u32 v131, vcc_lo, 0x4800, v127
	v_add_co_ci_u32_e32 v132, vcc_lo, 0, v128, vcc_lo
	global_load_dwordx4 v[173:176], v[119:120], off offset:128
	buffer_store_dword v225, off, s[24:27], 0 offset:628 ; 4-byte Folded Spill
	buffer_store_dword v226, off, s[24:27], 0 offset:632 ; 4-byte Folded Spill
	buffer_store_dword v227, off, s[24:27], 0 offset:636 ; 4-byte Folded Spill
	buffer_store_dword v228, off, s[24:27], 0 offset:640 ; 4-byte Folded Spill
	buffer_store_dword v197, off, s[24:27], 0 offset:420 ; 4-byte Folded Spill
	buffer_store_dword v198, off, s[24:27], 0 offset:424 ; 4-byte Folded Spill
	buffer_store_dword v199, off, s[24:27], 0 offset:428 ; 4-byte Folded Spill
	buffer_store_dword v200, off, s[24:27], 0 offset:432 ; 4-byte Folded Spill
	buffer_store_dword v133, off, s[24:27], 0 offset:164 ; 4-byte Folded Spill
	buffer_store_dword v134, off, s[24:27], 0 offset:168 ; 4-byte Folded Spill
	buffer_store_dword v135, off, s[24:27], 0 offset:172 ; 4-byte Folded Spill
	buffer_store_dword v136, off, s[24:27], 0 offset:176 ; 4-byte Folded Spill
	buffer_store_dword v213, off, s[24:27], 0 offset:484 ; 4-byte Folded Spill
	buffer_store_dword v214, off, s[24:27], 0 offset:488 ; 4-byte Folded Spill
	buffer_store_dword v215, off, s[24:27], 0 offset:492 ; 4-byte Folded Spill
	buffer_store_dword v216, off, s[24:27], 0 offset:496 ; 4-byte Folded Spill
	buffer_store_dword v205, off, s[24:27], 0 offset:452 ; 4-byte Folded Spill
	buffer_store_dword v206, off, s[24:27], 0 offset:456 ; 4-byte Folded Spill
	buffer_store_dword v207, off, s[24:27], 0 offset:460 ; 4-byte Folded Spill
	buffer_store_dword v208, off, s[24:27], 0 offset:464 ; 4-byte Folded Spill
	buffer_store_dword v129, off, s[24:27], 0 offset:120 ; 4-byte Folded Spill
	buffer_store_dword v130, off, s[24:27], 0 offset:124 ; 4-byte Folded Spill
	v_mul_f64 v[119:120], v[17:18], v[203:204]
	v_fma_f64 v[15:16], v[15:16], v[201:202], v[119:120]
	s_waitcnt vmcnt(21)
	v_mul_f64 v[119:120], v[53:54], v[195:196]
	v_fma_f64 v[5:6], v[5:6], v[225:226], -v[101:102]
	v_fma_f64 v[37:38], v[37:38], v[197:198], -v[105:106]
	;; [unrolled: 1-line block ×3, first 2 shown]
	v_mul_f64 v[101:102], v[23:24], v[163:164]
	v_mul_f64 v[105:106], v[27:28], v[167:168]
	v_fma_f64 v[23:24], v[23:24], v[161:162], v[99:100]
	v_fma_f64 v[27:28], v[27:28], v[165:166], v[103:104]
	global_load_dwordx4 v[133:136], v[129:130], off offset:640
	buffer_store_dword v201, off, s[24:27], 0 offset:436 ; 4-byte Folded Spill
	buffer_store_dword v202, off, s[24:27], 0 offset:440 ; 4-byte Folded Spill
	;; [unrolled: 1-line block ×16, first 2 shown]
	v_fma_f64 v[9:10], v[9:10], v[213:214], -v[113:114]
	v_mul_f64 v[109:110], v[31:32], v[211:212]
	v_fma_f64 v[13:14], v[13:14], v[205:206], -v[117:118]
	v_mul_f64 v[113:114], v[43:44], v[223:224]
	v_mul_f64 v[117:118], v[47:48], v[219:220]
	v_fma_f64 v[31:32], v[31:32], v[209:210], v[107:108]
	v_fma_f64 v[43:44], v[43:44], v[221:222], v[111:112]
	;; [unrolled: 1-line block ×3, first 2 shown]
	s_waitcnt vmcnt(20)
	v_mul_f64 v[99:100], v[57:58], v[191:192]
	s_waitcnt vmcnt(18)
	v_mul_f64 v[103:104], v[59:60], v[179:180]
	;; [unrolled: 2-line block ×4, first 2 shown]
	v_fma_f64 v[17:18], v[17:18], v[201:202], -v[121:122]
	v_fma_f64 v[21:22], v[21:22], v[169:170], -v[125:126]
	global_load_dwordx4 v[123:126], v[95:96], off offset:1408
	buffer_store_dword v209, off, s[24:27], 0 offset:468 ; 4-byte Folded Spill
	buffer_store_dword v210, off, s[24:27], 0 offset:472 ; 4-byte Folded Spill
	;; [unrolled: 1-line block ×14, first 2 shown]
	v_mul_f64 v[121:122], v[51:52], v[195:196]
	v_fma_f64 v[25:26], v[25:26], v[161:162], -v[101:102]
	v_mul_f64 v[101:102], v[55:56], v[191:192]
	v_fma_f64 v[51:52], v[51:52], v[193:194], v[119:120]
	v_fma_f64 v[55:56], v[55:56], v[189:190], v[99:100]
	v_fma_f64 v[29:30], v[29:30], v[165:166], -v[105:106]
	v_mul_f64 v[95:96], v[61:62], v[179:180]
	v_mul_f64 v[105:106], v[65:66], v[183:184]
	s_waitcnt vmcnt(13)
	v_mul_f64 v[99:100], v[71:72], v[151:152]
	v_fma_f64 v[59:60], v[59:60], v[177:178], v[95:96]
	v_fma_f64 v[63:64], v[63:64], v[181:182], v[105:106]
	s_waitcnt vmcnt(11)
	v_mul_f64 v[95:96], v[77:78], v[143:144]
	v_fma_f64 v[33:34], v[33:34], v[209:210], -v[109:110]
	v_mul_f64 v[109:110], v[69:70], v[187:188]
	v_fma_f64 v[49:50], v[49:50], v[217:218], -v[117:118]
	v_fma_f64 v[45:46], v[45:46], v[221:222], -v[113:114]
	v_mul_f64 v[113:114], v[73:74], v[151:152]
	global_load_dwordx4 v[115:118], v[131:132], off offset:768
	buffer_store_dword v193, off, s[24:27], 0 offset:404 ; 4-byte Folded Spill
	buffer_store_dword v194, off, s[24:27], 0 offset:408 ; 4-byte Folded Spill
	;; [unrolled: 1-line block ×8, first 2 shown]
	v_fma_f64 v[67:68], v[67:68], v[185:186], v[109:110]
	v_fma_f64 v[71:72], v[71:72], v[149:150], v[113:114]
	v_fma_f64 v[53:54], v[53:54], v[193:194], -v[121:122]
	v_fma_f64 v[57:58], v[57:58], v[189:190], -v[101:102]
	v_add_co_u32 v101, vcc_lo, 0x7000, v127
	v_add_co_ci_u32_e32 v102, vcc_lo, 0, v128, vcc_lo
	global_load_dwordx4 v[119:122], v[97:98], off offset:1536
	buffer_store_dword v177, off, s[24:27], 0 offset:340 ; 4-byte Folded Spill
	buffer_store_dword v178, off, s[24:27], 0 offset:344 ; 4-byte Folded Spill
	;; [unrolled: 1-line block ×14, first 2 shown]
	v_mul_f64 v[97:98], v[75:76], v[143:144]
	v_fma_f64 v[75:76], v[75:76], v[141:142], v[95:96]
	s_waitcnt vmcnt(9)
	v_mul_f64 v[95:96], v[83:84], v[155:156]
	v_add_co_u32 v0, vcc_lo, v0, s14
	v_add_co_ci_u32_e32 v1, vcc_lo, s15, v1, vcc_lo
	v_mad_u64_u32 v[105:106], null, 0x1b00, s12, v[0:1]
	v_add_nc_u32_e32 v106, s6, v106
	v_fma_f64 v[61:62], v[61:62], v[177:178], -v[103:104]
	v_mul_f64 v[103:104], v[85:86], v[155:156]
	v_fma_f64 v[65:66], v[65:66], v[181:182], -v[107:108]
	v_fma_f64 v[69:70], v[69:70], v[185:186], -v[111:112]
	global_load_dwordx4 v[129:132], v[101:102], off offset:896
	buffer_store_dword v149, off, s[24:27], 0 offset:228 ; 4-byte Folded Spill
	buffer_store_dword v150, off, s[24:27], 0 offset:232 ; 4-byte Folded Spill
	;; [unrolled: 1-line block ×4, first 2 shown]
	v_mul_f64 v[101:102], v[81:82], v[147:148]
	buffer_store_dword v141, off, s[24:27], 0 offset:196 ; 4-byte Folded Spill
	buffer_store_dword v142, off, s[24:27], 0 offset:200 ; 4-byte Folded Spill
	;; [unrolled: 1-line block ×4, first 2 shown]
	v_fma_f64 v[83:84], v[83:84], v[153:154], v[103:104]
	s_waitcnt vmcnt(6)
	v_mul_f64 v[103:104], v[91:92], v[139:140]
	v_fma_f64 v[73:74], v[73:74], v[149:150], -v[99:100]
	v_mul_f64 v[99:100], v[79:80], v[147:148]
	v_fma_f64 v[79:80], v[79:80], v[145:146], v[101:102]
	buffer_store_dword v145, off, s[24:27], 0 offset:212 ; 4-byte Folded Spill
	buffer_store_dword v146, off, s[24:27], 0 offset:216 ; 4-byte Folded Spill
	;; [unrolled: 1-line block ×8, first 2 shown]
	v_fma_f64 v[77:78], v[77:78], v[141:142], -v[97:98]
	v_mul_f64 v[97:98], v[89:90], v[159:160]
	v_mul_f64 v[101:102], v[93:94], v[139:140]
	v_fma_f64 v[91:92], v[91:92], v[137:138], v[101:102]
	v_fma_f64 v[81:82], v[81:82], v[145:146], -v[99:100]
	v_mul_f64 v[99:100], v[87:88], v[159:160]
	v_fma_f64 v[87:88], v[87:88], v[157:158], v[97:98]
	buffer_store_dword v157, off, s[24:27], 0 offset:260 ; 4-byte Folded Spill
	buffer_store_dword v158, off, s[24:27], 0 offset:264 ; 4-byte Folded Spill
	;; [unrolled: 1-line block ×4, first 2 shown]
	v_fma_f64 v[85:86], v[85:86], v[153:154], -v[95:96]
	global_load_dwordx4 v[95:98], v[0:1], off
	buffer_store_dword v137, off, s[24:27], 0 offset:180 ; 4-byte Folded Spill
	buffer_store_dword v138, off, s[24:27], 0 offset:184 ; 4-byte Folded Spill
	;; [unrolled: 1-line block ×4, first 2 shown]
	v_add_co_u32 v0, vcc_lo, v105, s14
	v_add_co_ci_u32_e32 v1, vcc_lo, s15, v106, vcc_lo
	ds_write_b128 v238, v[3:6]
	v_add_co_u32 v107, vcc_lo, v0, s14
	v_add_co_ci_u32_e32 v108, vcc_lo, s15, v1, vcc_lo
	v_add_co_u32 v109, vcc_lo, 0x8000, v127
	v_add_co_ci_u32_e32 v110, vcc_lo, 0, v128, vcc_lo
	global_load_dwordx4 v[3:6], v[107:108], off
	ds_write_b128 v238, v[35:38] offset:27648
	ds_write_b128 v238, v[7:10] offset:3456
	;; [unrolled: 1-line block ×3, first 2 shown]
	v_fma_f64 v[89:90], v[89:90], v[157:158], -v[99:100]
	global_load_dwordx4 v[99:102], v[105:106], off
	v_fma_f64 v[93:94], v[93:94], v[137:138], -v[103:104]
	global_load_dwordx4 v[103:106], v[0:1], off
	v_add_co_u32 v0, vcc_lo, v107, s14
	v_add_co_ci_u32_e32 v1, vcc_lo, s15, v108, vcc_lo
	v_add_co_u32 v107, vcc_lo, v0, s14
	v_add_co_ci_u32_e32 v108, vcc_lo, s15, v1, vcc_lo
	global_load_dwordx4 v[35:38], v[0:1], off
	v_add_co_u32 v0, vcc_lo, v107, s14
	global_load_dwordx4 v[7:10], v[107:108], off
	buffer_store_dword v109, off, s[24:27], 0 offset:152 ; 4-byte Folded Spill
	buffer_store_dword v110, off, s[24:27], 0 offset:156 ; 4-byte Folded Spill
	v_add_co_ci_u32_e32 v1, vcc_lo, s15, v108, vcc_lo
	ds_write_b128 v238, v[15:18] offset:10368
	s_waitcnt vmcnt(5)
	v_mul_f64 v[15:16], v[97:98], v[135:136]
	ds_write_b128 v238, v[19:22] offset:13824
	global_load_dwordx4 v[11:14], v[0:1], off
	v_mul_f64 v[17:18], v[95:96], v[135:136]
	ds_write_b128 v238, v[23:26] offset:17280
	ds_write_b128 v238, v[27:30] offset:20736
	;; [unrolled: 1-line block ×3, first 2 shown]
	s_waitcnt vmcnt(5)
	v_mul_f64 v[27:28], v[5:6], v[175:176]
	v_mul_f64 v[29:30], v[3:4], v[175:176]
	v_cmp_gt_u16_e32 vcc_lo, 36, v2
	v_fma_f64 v[15:16], v[95:96], v[133:134], v[15:16]
	v_fma_f64 v[3:4], v[3:4], v[173:174], v[27:28]
	s_waitcnt vmcnt(4)
	v_mul_f64 v[19:20], v[101:102], v[125:126]
	v_mul_f64 v[21:22], v[99:100], v[125:126]
	s_waitcnt vmcnt(3)
	v_mul_f64 v[23:24], v[105:106], v[117:118]
	v_mul_f64 v[25:26], v[103:104], v[117:118]
	;; [unrolled: 3-line block ×3, first 2 shown]
	global_load_dwordx4 v[107:110], v[109:110], off offset:256
	buffer_store_dword v133, off, s[24:27], 0 offset:564 ; 4-byte Folded Spill
	buffer_store_dword v134, off, s[24:27], 0 offset:568 ; 4-byte Folded Spill
	;; [unrolled: 1-line block ×4, first 2 shown]
	s_waitcnt vmcnt(2)
	v_mul_f64 v[95:96], v[9:10], v[131:132]
	v_fma_f64 v[19:20], v[99:100], v[123:124], v[19:20]
	buffer_store_dword v123, off, s[24:27], 0 offset:532 ; 4-byte Folded Spill
	buffer_store_dword v124, off, s[24:27], 0 offset:536 ; 4-byte Folded Spill
	;; [unrolled: 1-line block ×4, first 2 shown]
	v_fma_f64 v[23:24], v[103:104], v[115:116], v[23:24]
	buffer_store_dword v115, off, s[24:27], 0 offset:548 ; 4-byte Folded Spill
	buffer_store_dword v116, off, s[24:27], 0 offset:552 ; 4-byte Folded Spill
	;; [unrolled: 1-line block ×4, first 2 shown]
	s_load_dwordx2 s[6:7], s[4:5], 0x38
	s_load_dwordx4 s[8:11], s[2:3], 0x0
	ds_write_b128 v238, v[43:46] offset:31104
	buffer_store_dword v173, off, s[24:27], 0 offset:324 ; 4-byte Folded Spill
	buffer_store_dword v174, off, s[24:27], 0 offset:328 ; 4-byte Folded Spill
	buffer_store_dword v175, off, s[24:27], 0 offset:332 ; 4-byte Folded Spill
	buffer_store_dword v176, off, s[24:27], 0 offset:336 ; 4-byte Folded Spill
	v_fma_f64 v[27:28], v[35:36], v[119:120], v[31:32]
	buffer_store_dword v119, off, s[24:27], 0 offset:580 ; 4-byte Folded Spill
	buffer_store_dword v120, off, s[24:27], 0 offset:584 ; 4-byte Folded Spill
	;; [unrolled: 1-line block ×4, first 2 shown]
	v_fma_f64 v[17:18], v[97:98], v[133:134], -v[17:18]
	v_mul_f64 v[97:98], v[7:8], v[131:132]
	s_waitcnt vmcnt(0)
	v_mul_f64 v[99:100], v[13:14], v[109:110]
	v_fma_f64 v[7:8], v[7:8], v[129:130], v[95:96]
	buffer_store_dword v129, off, s[24:27], 0 offset:596 ; 4-byte Folded Spill
	buffer_store_dword v130, off, s[24:27], 0 offset:600 ; 4-byte Folded Spill
	;; [unrolled: 1-line block ×4, first 2 shown]
	v_fma_f64 v[21:22], v[101:102], v[123:124], -v[21:22]
	v_mul_f64 v[101:102], v[11:12], v[109:110]
	v_fma_f64 v[25:26], v[105:106], v[115:116], -v[25:26]
	v_fma_f64 v[5:6], v[5:6], v[173:174], -v[29:30]
	;; [unrolled: 1-line block ×3, first 2 shown]
	v_fma_f64 v[11:12], v[11:12], v[107:108], v[99:100]
	buffer_store_dword v107, off, s[24:27], 0 offset:612 ; 4-byte Folded Spill
	buffer_store_dword v108, off, s[24:27], 0 offset:616 ; 4-byte Folded Spill
	;; [unrolled: 1-line block ×4, first 2 shown]
	ds_write_b128 v238, v[47:50] offset:960
	ds_write_b128 v238, v[51:54] offset:4416
	;; [unrolled: 1-line block ×16, first 2 shown]
	v_fma_f64 v[9:10], v[9:10], v[129:130], -v[97:98]
	v_fma_f64 v[13:14], v[13:14], v[107:108], -v[101:102]
	ds_write_b128 v238, v[3:6] offset:22656
	ds_write_b128 v238, v[27:30] offset:26112
	;; [unrolled: 1-line block ×4, first 2 shown]
	s_and_saveexec_b32 s2, vcc_lo
	s_cbranch_execz .LBB0_3
; %bb.2:
	v_add_co_u32 v0, s0, v0, s0
	v_add_co_ci_u32_e64 v1, s0, s1, v1, s0
	v_add_co_u32 v8, s0, v0, s14
	v_add_co_ci_u32_e64 v9, s0, s15, v1, s0
	global_load_dwordx4 v[0:3], v[0:1], off
	global_load_dwordx4 v[4:7], v[8:9], off
	v_add_co_u32 v16, s0, v8, s14
	v_add_co_ci_u32_e64 v17, s0, s15, v9, s0
	s_clause 0x1
	buffer_load_dword v8, off, s[24:27], 0 offset:136
	buffer_load_dword v9, off, s[24:27], 0 offset:140
	v_add_co_u32 v20, s0, v16, s14
	v_add_co_ci_u32_e64 v21, s0, s15, v17, s0
	v_add_co_u32 v32, s0, v20, s14
	v_add_co_ci_u32_e64 v33, s0, s15, v21, s0
	;; [unrolled: 2-line block ×7, first 2 shown]
	s_waitcnt vmcnt(0)
	global_load_dwordx4 v[8:11], v[8:9], off offset:832
	s_clause 0x1
	buffer_load_dword v12, off, s[24:27], 0 offset:92
	buffer_load_dword v13, off, s[24:27], 0 offset:96
	global_load_dwordx4 v[16:19], v[16:17], off
	global_load_dwordx4 v[20:23], v[20:21], off
	s_waitcnt vmcnt(4)
	v_mul_f64 v[80:81], v[2:3], v[10:11]
	s_waitcnt vmcnt(2)
	global_load_dwordx4 v[12:15], v[12:13], off offset:192
	s_clause 0x1
	buffer_load_dword v24, off, s[24:27], 0 offset:120
	buffer_load_dword v25, off, s[24:27], 0 offset:124
	v_mul_f64 v[10:11], v[0:1], v[10:11]
	v_fma_f64 v[0:1], v[0:1], v[8:9], v[80:81]
	v_fma_f64 v[2:3], v[2:3], v[8:9], -v[10:11]
	s_waitcnt vmcnt(2)
	v_mul_f64 v[82:83], v[6:7], v[14:15]
	s_waitcnt vmcnt(0)
	global_load_dwordx4 v[24:27], v[24:25], off offset:1600
	s_clause 0x1
	buffer_load_dword v28, off, s[24:27], 0 offset:84
	buffer_load_dword v29, off, s[24:27], 0 offset:88
	v_mul_f64 v[14:15], v[4:5], v[14:15]
	v_fma_f64 v[4:5], v[4:5], v[12:13], v[82:83]
	v_fma_f64 v[6:7], v[6:7], v[12:13], -v[14:15]
	s_waitcnt vmcnt(2)
	v_mul_f64 v[84:85], v[18:19], v[26:27]
	s_waitcnt vmcnt(0)
	global_load_dwordx4 v[28:31], v[28:29], off offset:960
	global_load_dwordx4 v[32:35], v[32:33], off
	global_load_dwordx4 v[36:39], v[36:37], off
	s_clause 0x1
	buffer_load_dword v40, off, s[24:27], 0 offset:76
	buffer_load_dword v41, off, s[24:27], 0 offset:80
	v_mul_f64 v[26:27], v[16:17], v[26:27]
	v_fma_f64 v[8:9], v[16:17], v[24:25], v[84:85]
	v_fma_f64 v[10:11], v[18:19], v[24:25], -v[26:27]
	s_waitcnt vmcnt(4)
	v_mul_f64 v[86:87], v[22:23], v[30:31]
	v_mul_f64 v[30:31], v[20:21], v[30:31]
	s_waitcnt vmcnt(0)
	global_load_dwordx4 v[40:43], v[40:41], off offset:320
	s_clause 0x1
	buffer_load_dword v44, off, s[24:27], 0 offset:128
	buffer_load_dword v45, off, s[24:27], 0 offset:132
	s_waitcnt vmcnt(0)
	global_load_dwordx4 v[44:47], v[44:45], off offset:1728
	global_load_dwordx4 v[48:51], v[52:53], off
	s_clause 0x1
	buffer_load_dword v52, off, s[24:27], 0 offset:100
	buffer_load_dword v53, off, s[24:27], 0 offset:104
	global_load_dwordx4 v[56:59], v[56:57], off
	v_mul_f64 v[88:89], v[34:35], v[42:43]
	v_mul_f64 v[42:43], v[32:33], v[42:43]
	v_fma_f64 v[12:13], v[20:21], v[28:29], v[86:87]
	v_fma_f64 v[14:15], v[22:23], v[28:29], -v[30:31]
	v_fma_f64 v[16:17], v[32:33], v[40:41], v[88:89]
	v_fma_f64 v[18:19], v[34:35], v[40:41], -v[42:43]
	s_waitcnt vmcnt(4)
	v_mul_f64 v[90:91], v[38:39], v[46:47]
	v_mul_f64 v[46:47], v[36:37], v[46:47]
	s_waitcnt vmcnt(1)
	global_load_dwordx4 v[52:55], v[52:53], off offset:1088
	s_clause 0x1
	buffer_load_dword v60, off, s[24:27], 0 offset:108
	buffer_load_dword v61, off, s[24:27], 0 offset:112
	s_waitcnt vmcnt(0)
	global_load_dwordx4 v[60:63], v[60:61], off offset:448
	global_load_dwordx4 v[64:67], v[64:65], off
	s_clause 0x1
	buffer_load_dword v68, off, s[24:27], 0 offset:144
	buffer_load_dword v69, off, s[24:27], 0 offset:148
	v_mul_f64 v[92:93], v[50:51], v[54:55]
	v_mul_f64 v[54:55], v[48:49], v[54:55]
	v_fma_f64 v[20:21], v[36:37], v[44:45], v[90:91]
	v_fma_f64 v[22:23], v[38:39], v[44:45], -v[46:47]
	v_fma_f64 v[24:25], v[48:49], v[52:53], v[92:93]
	v_fma_f64 v[26:27], v[50:51], v[52:53], -v[54:55]
	s_waitcnt vmcnt(3)
	v_mul_f64 v[94:95], v[58:59], v[62:63]
	v_mul_f64 v[62:63], v[56:57], v[62:63]
	s_waitcnt vmcnt(0)
	global_load_dwordx4 v[68:71], v[68:69], off offset:1856
	s_clause 0x1
	buffer_load_dword v72, off, s[24:27], 0 offset:152
	buffer_load_dword v73, off, s[24:27], 0 offset:156
	s_waitcnt vmcnt(0)
	global_load_dwordx4 v[72:75], v[72:73], off offset:1216
	global_load_dwordx4 v[76:79], v[76:77], off
	v_mul_f64 v[96:97], v[66:67], v[70:71]
	v_mul_f64 v[70:71], v[64:65], v[70:71]
	v_fma_f64 v[28:29], v[56:57], v[60:61], v[94:95]
	v_fma_f64 v[30:31], v[58:59], v[60:61], -v[62:63]
	v_fma_f64 v[32:33], v[64:65], v[68:69], v[96:97]
	v_fma_f64 v[34:35], v[66:67], v[68:69], -v[70:71]
	s_waitcnt vmcnt(0)
	v_mul_f64 v[98:99], v[78:79], v[74:75]
	v_mul_f64 v[74:75], v[76:77], v[74:75]
	v_fma_f64 v[36:37], v[76:77], v[72:73], v[98:99]
	v_fma_f64 v[38:39], v[78:79], v[72:73], -v[74:75]
	ds_write_b128 v238, v[0:3] offset:2880
	ds_write_b128 v238, v[4:7] offset:6336
	;; [unrolled: 1-line block ×10, first 2 shown]
.LBB0_3:
	s_or_b32 exec_lo, exec_lo, s2
	s_waitcnt lgkmcnt(0)
	s_waitcnt_vscnt null, 0x0
	s_barrier
	buffer_gl0_inv
	ds_read_b128 v[136:139], v238 offset:3456
	ds_read_b128 v[96:99], v238 offset:4416
	;; [unrolled: 1-line block ×28, first 2 shown]
	ds_read_b128 v[156:159], v238
	ds_read_b128 v[60:63], v238 offset:33024
	s_load_dwordx2 s[2:3], s[4:5], 0x8
                                        ; implicit-def: $vgpr28_vgpr29
                                        ; implicit-def: $vgpr0_vgpr1
                                        ; implicit-def: $vgpr4_vgpr5
                                        ; implicit-def: $vgpr8_vgpr9
                                        ; implicit-def: $vgpr12_vgpr13
                                        ; implicit-def: $vgpr16_vgpr17
                                        ; implicit-def: $vgpr20_vgpr21
                                        ; implicit-def: $vgpr24_vgpr25
                                        ; implicit-def: $vgpr32_vgpr33
                                        ; implicit-def: $vgpr36_vgpr37
	s_and_saveexec_b32 s0, vcc_lo
	s_cbranch_execz .LBB0_5
; %bb.4:
	ds_read_b128 v[0:3], v238 offset:6336
	ds_read_b128 v[4:7], v238 offset:9792
	;; [unrolled: 1-line block ×10, first 2 shown]
.LBB0_5:
	s_or_b32 exec_lo, exec_lo, s0
	s_waitcnt lgkmcnt(0)
	v_add_f64 v[162:163], v[144:145], v[152:153]
	v_add_f64 v[160:161], v[148:149], v[140:141]
	;; [unrolled: 1-line block ×3, first 2 shown]
	v_add_f64 v[184:185], v[146:147], -v[154:155]
	v_add_f64 v[239:240], v[146:147], -v[150:151]
	;; [unrolled: 1-line block ×19, first 2 shown]
	v_fma_f64 v[164:165], v[162:163], -0.5, v[156:157]
	v_add_f64 v[162:163], v[150:151], v[142:143]
	v_fma_f64 v[160:161], v[160:161], -0.5, v[156:157]
	v_fma_f64 v[166:167], v[166:167], -0.5, v[158:159]
	v_add_f64 v[156:157], v[156:157], v[144:145]
	v_add_f64 v[144:145], v[144:145], -v[152:153]
	v_add_f64 v[168:169], v[106:107], -v[114:115]
	;; [unrolled: 1-line block ×6, first 2 shown]
	s_mov_b32 s14, 0x134454ff
	s_mov_b32 s15, 0x3fee6f0e
	v_add_f64 v[210:211], v[102:103], -v[114:115]
	v_add_f64 v[228:229], v[82:83], -v[94:95]
	;; [unrolled: 1-line block ×5, first 2 shown]
	s_mov_b32 s4, 0x4755a5e
	s_mov_b32 s5, 0x3fe2cf23
	;; [unrolled: 1-line block ×4, first 2 shown]
	v_add_f64 v[172:173], v[92:93], -v[84:85]
	v_fma_f64 v[162:163], v[162:163], -0.5, v[158:159]
	v_add_f64 v[158:159], v[158:159], v[146:147]
	v_add_f64 v[146:147], v[150:151], -v[142:143]
	v_add_f64 v[156:157], v[156:157], v[148:149]
	v_add_f64 v[148:149], v[148:149], -v[140:141]
	v_add_f64 v[214:215], v[86:87], -v[90:91]
	;; [unrolled: 1-line block ×3, first 2 shown]
	s_mov_b32 s18, 0x372fe950
	s_mov_b32 s1, 0xbfe2cf23
	;; [unrolled: 1-line block ×6, first 2 shown]
	v_add_f64 v[174:175], v[94:95], -v[86:87]
	v_add_f64 v[158:159], v[158:159], v[150:151]
	v_add_f64 v[150:151], v[156:157], v[140:141]
	;; [unrolled: 1-line block ×6, first 2 shown]
	v_fma_f64 v[140:141], v[140:141], -0.5, v[136:137]
	v_add_f64 v[158:159], v[108:109], -v[100:101]
	v_add_f64 v[245:246], v[156:157], v[154:155]
	v_fma_f64 v[150:151], v[142:143], -0.5, v[138:139]
	v_add_f64 v[142:143], v[128:129], v[124:125]
	v_add_f64 v[156:157], v[110:111], -v[102:103]
	v_fma_f64 v[186:187], v[142:143], -0.5, v[136:137]
	v_add_f64 v[136:137], v[136:137], v[128:129]
	v_add_f64 v[142:143], v[134:135], v[122:123]
	;; [unrolled: 1-line block ×3, first 2 shown]
	v_fma_f64 v[142:143], v[142:143], -0.5, v[138:139]
	v_add_f64 v[138:139], v[138:139], v[130:131]
	v_add_f64 v[132:133], v[132:133], -v[128:129]
	v_add_f64 v[128:129], v[128:129], -v[124:125]
	v_add_f64 v[130:131], v[130:131], -v[126:127]
	v_add_f64 v[136:137], v[136:137], v[120:121]
	v_add_f64 v[120:121], v[120:121], -v[124:125]
	v_add_f64 v[138:139], v[138:139], v[134:135]
	v_add_f64 v[134:135], v[122:123], -v[126:127]
	v_add_f64 v[124:125], v[136:137], v[124:125]
	v_add_f64 v[136:137], v[108:109], v[100:101]
	;; [unrolled: 1-line block ×3, first 2 shown]
	v_add_f64 v[122:123], v[126:127], -v[122:123]
	v_fma_f64 v[152:153], v[136:137], -0.5, v[116:117]
	v_add_f64 v[136:137], v[104:105], v[112:113]
	v_add_f64 v[126:127], v[138:139], v[126:127]
	v_fma_f64 v[138:139], v[136:137], -0.5, v[116:117]
	v_add_f64 v[116:117], v[116:117], v[104:105]
	v_add_f64 v[136:137], v[110:111], v[102:103]
	;; [unrolled: 1-line block ×3, first 2 shown]
	v_add_f64 v[108:109], v[112:113], -v[100:101]
	v_fma_f64 v[154:155], v[136:137], -0.5, v[118:119]
	v_add_f64 v[136:137], v[106:107], v[114:115]
	v_add_f64 v[116:117], v[216:217], v[134:135]
	;; [unrolled: 1-line block ×4, first 2 shown]
	v_fma_f64 v[136:137], v[136:137], -0.5, v[118:119]
	v_add_f64 v[118:119], v[118:119], v[106:107]
	v_add_f64 v[222:223], v[104:105], v[112:113]
	v_fma_f64 v[178:179], v[100:101], -0.5, v[96:97]
	v_add_f64 v[100:101], v[82:83], v[90:91]
	v_add_f64 v[112:113], v[92:93], -v[80:81]
	v_add_f64 v[106:107], v[118:119], v[110:111]
	v_add_f64 v[110:111], v[114:115], -v[102:103]
	v_add_f64 v[118:119], v[132:133], v[120:121]
	v_add_f64 v[120:121], v[188:189], v[192:193]
	;; [unrolled: 1-line block ×3, first 2 shown]
	v_fma_f64 v[200:201], v[100:101], -0.5, v[98:99]
	v_add_f64 v[100:101], v[80:81], v[88:89]
	v_add_f64 v[106:107], v[106:107], v[102:103]
	v_add_f64 v[192:193], v[192:193], v[68:69]
	v_fma_f64 v[202:203], v[100:101], -0.5, v[96:97]
	v_add_f64 v[100:101], v[94:95], v[86:87]
	v_add_f64 v[96:97], v[96:97], v[80:81]
	;; [unrolled: 1-line block ×3, first 2 shown]
	v_add_f64 v[114:115], v[94:95], -v[82:83]
	v_fma_f64 v[176:177], v[100:101], -0.5, v[98:99]
	v_add_f64 v[98:99], v[98:99], v[82:83]
	v_add_f64 v[96:97], v[96:97], v[92:93]
	;; [unrolled: 1-line block ×7, first 2 shown]
	v_fma_f64 v[88:89], v[130:131], s[14:15], v[140:141]
	v_add_f64 v[80:81], v[243:244], -v[124:125]
	v_add_f64 v[124:125], v[234:235], v[236:237]
	v_add_f64 v[234:235], v[247:248], v[251:252]
	;; [unrolled: 1-line block ×7, first 2 shown]
	v_fma_f64 v[90:91], v[128:129], s[12:13], v[142:143]
	v_fma_f64 v[88:89], v[198:199], s[4:5], v[88:89]
	v_add_f64 v[82:83], v[245:246], -v[126:127]
	v_add_f64 v[126:127], v[239:240], v[241:242]
	v_add_f64 v[194:195], v[194:195], v[70:71]
	v_fma_f64 v[90:91], v[196:197], s[0:1], v[90:91]
	v_fma_f64 v[88:89], v[234:235], s[18:19], v[88:89]
	;; [unrolled: 1-line block ×3, first 2 shown]
	v_mul_f64 v[92:93], v[88:89], s[20:21]
	v_mul_f64 v[88:89], v[88:89], s[0:1]
	v_fma_f64 v[100:101], v[90:91], s[4:5], v[92:93]
	v_fma_f64 v[90:91], v[90:91], s[20:21], v[88:89]
	;; [unrolled: 1-line block ×8, first 2 shown]
	v_add_f64 v[92:93], v[88:89], v[100:101]
	v_add_f64 v[88:89], v[88:89], -v[100:101]
	v_fma_f64 v[100:101], v[196:197], s[14:15], v[150:151]
	v_add_f64 v[94:95], v[102:103], v[90:91]
	v_add_f64 v[90:91], v[102:103], -v[90:91]
	v_fma_f64 v[102:103], v[198:199], s[12:13], v[186:187]
	v_fma_f64 v[100:101], v[128:129], s[0:1], v[100:101]
	;; [unrolled: 1-line block ×5, first 2 shown]
	v_mul_f64 v[104:105], v[100:101], s[14:15]
	v_fma_f64 v[132:133], v[102:103], s[18:19], v[104:105]
	v_mul_f64 v[102:103], v[102:103], s[12:13]
	v_fma_f64 v[104:105], v[148:149], s[14:15], v[166:167]
	v_fma_f64 v[102:103], v[100:101], s[18:19], v[102:103]
	;; [unrolled: 1-line block ×7, first 2 shown]
	v_add_f64 v[106:107], v[134:135], v[102:103]
	v_add_f64 v[102:103], v[134:135], -v[102:103]
	v_add_f64 v[104:105], v[100:101], v[132:133]
	v_add_f64 v[100:101], v[100:101], -v[132:133]
	v_fma_f64 v[132:133], v[198:199], s[14:15], v[186:187]
	v_add_f64 v[186:187], v[228:229], v[232:233]
	v_add_f64 v[228:229], v[44:45], -v[60:61]
	v_fma_f64 v[132:133], v[130:131], s[0:1], v[132:133]
	v_fma_f64 v[130:131], v[130:131], s[12:13], v[140:141]
	;; [unrolled: 1-line block ×5, first 2 shown]
	v_add_f64 v[198:199], v[76:77], -v[68:69]
	v_fma_f64 v[132:133], v[128:129], s[4:5], v[132:133]
	v_fma_f64 v[128:129], v[128:129], s[14:15], v[142:143]
	v_fma_f64 v[130:131], v[234:235], s[18:19], v[130:131]
	v_fma_f64 v[116:117], v[116:117], s[18:19], v[132:133]
	v_fma_f64 v[132:133], v[146:147], s[14:15], v[164:165]
	v_fma_f64 v[128:129], v[196:197], s[4:5], v[128:129]
	v_add_f64 v[164:165], v[218:219], v[108:109]
	v_fma_f64 v[108:109], v[182:183], s[14:15], v[178:179]
	v_add_f64 v[218:219], v[56:57], -v[48:49]
	v_add_f64 v[196:197], v[76:77], v[72:73]
	v_fma_f64 v[132:133], v[184:185], s[0:1], v[132:133]
	v_fma_f64 v[128:129], v[236:237], s[18:19], v[128:129]
	;; [unrolled: 1-line block ×5, first 2 shown]
	v_add_f64 v[166:167], v[220:221], v[110:111]
	v_fma_f64 v[110:111], v[180:181], s[12:13], v[176:177]
	v_add_f64 v[220:221], v[58:59], -v[50:51]
	v_fma_f64 v[120:121], v[144:145], s[4:5], v[120:121]
	v_fma_f64 v[110:111], v[172:173], s[0:1], v[110:111]
	;; [unrolled: 1-line block ×3, first 2 shown]
	v_mul_f64 v[120:121], v[118:119], s[18:19]
	v_fma_f64 v[110:111], v[186:187], s[18:19], v[110:111]
	v_fma_f64 v[150:151], v[116:117], s[14:15], -v[120:121]
	v_mul_f64 v[116:117], v[116:117], s[18:19]
	v_add_f64 v[120:121], v[132:133], v[150:151]
	v_fma_f64 v[118:119], v[118:119], s[12:13], -v[116:117]
	v_add_f64 v[116:117], v[132:133], -v[150:151]
	v_fma_f64 v[132:133], v[184:185], s[12:13], v[160:161]
	v_add_f64 v[184:185], v[226:227], v[230:231]
	v_add_f64 v[160:161], v[204:205], v[208:209]
	;; [unrolled: 1-line block ×3, first 2 shown]
	v_add_f64 v[208:209], v[72:73], -v[64:65]
	v_add_f64 v[226:227], v[46:47], -v[62:63]
	;; [unrolled: 1-line block ×3, first 2 shown]
	v_add_f64 v[122:123], v[134:135], v[118:119]
	v_add_f64 v[118:119], v[134:135], -v[118:119]
	v_fma_f64 v[132:133], v[146:147], s[0:1], v[132:133]
	v_fma_f64 v[108:109], v[184:185], s[18:19], v[108:109]
	;; [unrolled: 1-line block ×3, first 2 shown]
	v_add_f64 v[162:163], v[206:207], v[210:211]
	v_add_f64 v[206:207], v[194:195], v[66:67]
	v_add_f64 v[210:211], v[74:75], -v[66:67]
	v_add_f64 v[194:195], v[66:67], -v[74:75]
	v_fma_f64 v[124:125], v[124:125], s[18:19], v[132:133]
	v_mul_f64 v[132:133], v[130:131], s[20:21]
	v_fma_f64 v[134:135], v[148:149], s[4:5], v[134:135]
	v_fma_f64 v[140:141], v[128:129], s[4:5], -v[132:133]
	v_mul_f64 v[128:129], v[128:129], s[20:21]
	v_fma_f64 v[126:127], v[126:127], s[18:19], v[134:135]
	v_add_f64 v[132:133], v[124:125], v[140:141]
	v_fma_f64 v[130:131], v[130:131], s[0:1], -v[128:129]
	v_add_f64 v[128:129], v[124:125], -v[140:141]
	v_mul_f64 v[140:141], v[108:109], s[20:21]
	v_mul_f64 v[108:109], v[108:109], s[0:1]
	v_add_f64 v[124:125], v[222:223], v[96:97]
	v_add_f64 v[96:97], v[222:223], -v[96:97]
	v_add_f64 v[222:223], v[44:45], -v[56:57]
	v_add_f64 v[134:135], v[126:127], v[130:131]
	v_add_f64 v[130:131], v[126:127], -v[130:131]
	v_fma_f64 v[144:145], v[110:111], s[4:5], v[140:141]
	v_fma_f64 v[110:111], v[110:111], s[20:21], v[108:109]
	;; [unrolled: 1-line block ×4, first 2 shown]
	v_add_f64 v[126:127], v[224:225], v[98:99]
	v_add_f64 v[98:99], v[224:225], -v[98:99]
	v_add_f64 v[224:225], v[58:59], -v[46:47]
	v_fma_f64 v[108:109], v[156:157], s[4:5], v[108:109]
	v_fma_f64 v[140:141], v[158:159], s[0:1], v[140:141]
	;; [unrolled: 1-line block ×4, first 2 shown]
	v_add_f64 v[140:141], v[108:109], v[144:145]
	v_add_f64 v[108:109], v[108:109], -v[144:145]
	v_add_f64 v[144:145], v[112:113], v[212:213]
	v_fma_f64 v[112:113], v[172:173], s[14:15], v[200:201]
	v_add_f64 v[142:143], v[146:147], v[110:111]
	v_add_f64 v[110:111], v[146:147], -v[110:111]
	v_add_f64 v[146:147], v[114:115], v[214:215]
	v_fma_f64 v[114:115], v[174:175], s[12:13], v[202:203]
	v_fma_f64 v[112:113], v[180:181], s[0:1], v[112:113]
	v_fma_f64 v[114:115], v[182:183], s[4:5], v[114:115]
	v_fma_f64 v[112:113], v[146:147], s[18:19], v[112:113]
	v_fma_f64 v[114:115], v[144:145], s[18:19], v[114:115]
	v_mul_f64 v[148:149], v[112:113], s[14:15]
	v_fma_f64 v[188:189], v[114:115], s[18:19], v[148:149]
	v_mul_f64 v[114:115], v[114:115], s[12:13]
	v_fma_f64 v[148:149], v[158:159], s[14:15], v[136:137]
	v_fma_f64 v[136:137], v[158:159], s[12:13], v[136:137]
	v_fma_f64 v[114:115], v[112:113], s[18:19], v[114:115]
	v_fma_f64 v[112:113], v[156:157], s[12:13], v[138:139]
	v_fma_f64 v[148:149], v[170:171], s[0:1], v[148:149]
	v_fma_f64 v[138:139], v[156:157], s[14:15], v[138:139]
	v_fma_f64 v[136:137], v[170:171], s[4:5], v[136:137]
	v_fma_f64 v[112:113], v[168:169], s[4:5], v[112:113]
	v_fma_f64 v[190:191], v[162:163], s[18:19], v[148:149]
	v_fma_f64 v[138:139], v[168:169], s[0:1], v[138:139]
	v_fma_f64 v[112:113], v[160:161], s[18:19], v[112:113]
	v_add_f64 v[150:151], v[190:191], v[114:115]
	v_fma_f64 v[138:139], v[160:161], s[18:19], v[138:139]
	v_fma_f64 v[160:161], v[162:163], s[18:19], v[136:137]
	v_add_f64 v[114:115], v[190:191], -v[114:115]
	v_add_f64 v[190:191], v[70:71], -v[78:79]
	v_add_f64 v[148:149], v[112:113], v[188:189]
	v_add_f64 v[112:113], v[112:113], -v[188:189]
	v_fma_f64 v[188:189], v[174:175], s[14:15], v[202:203]
	v_add_f64 v[202:203], v[78:79], -v[70:71]
	v_fma_f64 v[188:189], v[182:183], s[0:1], v[188:189]
	v_fma_f64 v[144:145], v[144:145], s[18:19], v[188:189]
	;; [unrolled: 1-line block ×3, first 2 shown]
	v_add_f64 v[200:201], v[78:79], v[74:75]
	v_mul_f64 v[136:137], v[144:145], s[18:19]
	v_fma_f64 v[188:189], v[180:181], s[4:5], v[188:189]
	v_fma_f64 v[146:147], v[146:147], s[18:19], v[188:189]
	v_add_f64 v[188:189], v[68:69], -v[76:77]
	v_fma_f64 v[136:137], v[146:147], s[14:15], -v[136:137]
	v_mul_f64 v[146:147], v[146:147], s[18:19]
	v_fma_f64 v[162:163], v[144:145], s[12:13], -v[146:147]
	v_add_f64 v[144:145], v[138:139], v[136:137]
	v_add_f64 v[136:137], v[138:139], -v[136:137]
	v_add_f64 v[146:147], v[160:161], v[162:163]
	v_add_f64 v[138:139], v[160:161], -v[162:163]
	v_add_f64 v[160:161], v[78:79], -v[74:75]
	;; [unrolled: 1-line block ×3, first 2 shown]
	v_add_f64 v[68:69], v[192:193], v[64:65]
	v_add_f64 v[192:193], v[64:65], -v[72:73]
	v_add_f64 v[64:65], v[56:57], v[48:49]
	v_add_f64 v[74:75], v[206:207], v[74:75]
	v_add_f64 v[162:163], v[76:77], -v[72:73]
	v_add_f64 v[76:77], v[70:71], -v[66:67]
	v_add_f64 v[70:71], v[70:71], v[66:67]
	v_add_f64 v[72:73], v[68:69], v[72:73]
	v_fma_f64 v[206:207], v[64:65], -0.5, v[52:53]
	v_add_f64 v[64:65], v[46:47], v[62:63]
	v_fma_f64 v[212:213], v[64:65], -0.5, v[54:55]
	;; [unrolled: 2-line block ×3, first 2 shown]
	v_add_f64 v[64:65], v[58:59], v[50:51]
	v_add_f64 v[52:53], v[52:53], v[44:45]
	v_fma_f64 v[216:217], v[64:65], -0.5, v[54:55]
	v_add_f64 v[54:55], v[54:55], v[46:47]
	v_add_f64 v[52:53], v[52:53], v[56:57]
	v_add_f64 v[56:57], v[56:57], -v[44:45]
	v_fma_f64 v[64:65], v[170:171], s[14:15], v[154:155]
	v_add_f64 v[170:171], v[198:199], v[208:209]
	v_add_f64 v[54:55], v[54:55], v[58:59]
	v_add_f64 v[58:59], v[46:47], -v[58:59]
	v_add_f64 v[44:45], v[52:53], v[48:49]
	v_add_f64 v[52:53], v[60:61], -v[48:49]
	v_fma_f64 v[64:65], v[158:159], s[4:5], v[64:65]
	v_fma_f64 v[158:159], v[196:197], -0.5, v[40:41]
	v_add_f64 v[48:49], v[48:49], -v[60:61]
	v_add_f64 v[46:47], v[54:55], v[50:51]
	v_add_f64 v[50:51], v[62:63], -v[50:51]
	v_add_f64 v[44:45], v[44:45], v[60:61]
	v_fma_f64 v[54:55], v[182:183], s[12:13], v[178:179]
	v_fma_f64 v[60:61], v[180:181], s[14:15], v[176:177]
	;; [unrolled: 1-line block ×3, first 2 shown]
	v_fma_f64 v[166:167], v[200:201], -0.5, v[42:43]
	v_add_f64 v[56:57], v[56:57], v[48:49]
	v_fma_f64 v[48:49], v[218:219], s[14:15], v[212:213]
	v_add_f64 v[46:47], v[46:47], v[62:63]
	v_fma_f64 v[62:63], v[168:169], s[12:13], v[152:153]
	v_add_f64 v[68:69], v[72:73], v[44:45]
	v_add_f64 v[168:169], v[222:223], v[52:53]
	v_fma_f64 v[54:55], v[174:175], s[0:1], v[54:55]
	v_fma_f64 v[60:61], v[172:173], s[4:5], v[60:61]
	v_add_f64 v[172:173], v[58:59], v[50:51]
	v_add_f64 v[174:175], v[202:203], v[210:211]
	v_fma_f64 v[48:49], v[228:229], s[0:1], v[48:49]
	v_fma_f64 v[62:63], v[156:157], s[0:1], v[62:63]
	v_fma_f64 v[156:157], v[204:205], -0.5, v[40:41]
	v_add_f64 v[40:41], v[72:73], -v[44:45]
	v_fma_f64 v[44:45], v[226:227], s[14:15], v[206:207]
	v_fma_f64 v[54:55], v[184:185], s[18:19], v[54:55]
	;; [unrolled: 1-line block ×3, first 2 shown]
	v_add_f64 v[72:73], v[188:189], v[192:193]
	v_fma_f64 v[62:63], v[164:165], s[18:19], v[62:63]
	v_fma_f64 v[164:165], v[70:71], -0.5, v[42:43]
	v_add_f64 v[70:71], v[74:75], v[46:47]
	v_add_f64 v[42:43], v[74:75], -v[46:47]
	v_fma_f64 v[44:45], v[220:221], s[4:5], v[44:45]
	v_fma_f64 v[46:47], v[228:229], s[12:13], v[216:217]
	v_mul_f64 v[64:65], v[54:55], s[20:21]
	v_add_f64 v[74:75], v[190:191], v[194:195]
	v_fma_f64 v[52:53], v[162:163], s[12:13], v[164:165]
	v_fma_f64 v[44:45], v[168:169], s[18:19], v[44:45]
	v_fma_f64 v[46:47], v[218:219], s[0:1], v[46:47]
	v_fma_f64 v[64:65], v[60:61], s[4:5], -v[64:65]
	v_mul_f64 v[60:61], v[60:61], s[20:21]
	v_fma_f64 v[52:53], v[78:79], s[0:1], v[52:53]
	v_mul_f64 v[50:51], v[44:45], s[20:21]
	v_fma_f64 v[46:47], v[172:173], s[18:19], v[46:47]
	v_mul_f64 v[44:45], v[44:45], s[0:1]
	v_fma_f64 v[54:55], v[54:55], s[0:1], -v[60:61]
	v_add_f64 v[152:153], v[62:63], v[64:65]
	v_add_f64 v[64:65], v[62:63], -v[64:65]
	v_fma_f64 v[58:59], v[174:175], s[18:19], v[52:53]
	v_fma_f64 v[50:51], v[46:47], s[4:5], v[50:51]
	;; [unrolled: 1-line block ×4, first 2 shown]
	v_add_f64 v[154:155], v[66:67], v[54:55]
	v_add_f64 v[66:67], v[66:67], -v[54:55]
	v_fma_f64 v[156:157], v[160:161], s[12:13], v[156:157]
	v_add_f64 v[54:55], v[58:59], v[46:47]
	v_fma_f64 v[44:45], v[76:77], s[4:5], v[44:45]
	v_add_f64 v[46:47], v[58:59], -v[46:47]
	v_add_f64 v[58:59], v[224:225], v[230:231]
	v_fma_f64 v[44:45], v[170:171], s[18:19], v[44:45]
	v_fma_f64 v[48:49], v[58:59], s[18:19], v[48:49]
	v_add_f64 v[52:53], v[44:45], v[50:51]
	v_add_f64 v[44:45], v[44:45], -v[50:51]
	v_fma_f64 v[50:51], v[220:221], s[12:13], v[214:215]
	v_mul_f64 v[60:61], v[48:49], s[14:15]
	v_fma_f64 v[50:51], v[226:227], s[4:5], v[50:51]
	v_fma_f64 v[50:51], v[56:57], s[18:19], v[50:51]
	;; [unrolled: 1-line block ×3, first 2 shown]
	v_mul_f64 v[50:51], v[50:51], s[12:13]
	v_fma_f64 v[60:61], v[78:79], s[14:15], v[166:167]
	v_fma_f64 v[50:51], v[48:49], s[18:19], v[50:51]
	;; [unrolled: 1-line block ×12, first 2 shown]
	v_add_f64 v[62:63], v[178:179], v[50:51]
	v_fma_f64 v[158:159], v[72:73], s[18:19], v[158:159]
	v_fma_f64 v[72:73], v[78:79], s[12:13], v[166:167]
	v_fma_f64 v[78:79], v[78:79], s[4:5], v[160:161]
	v_add_f64 v[50:51], v[178:179], -v[50:51]
	v_add_f64 v[60:61], v[48:49], v[176:177]
	v_add_f64 v[48:49], v[48:49], -v[176:177]
	v_fma_f64 v[176:177], v[220:221], s[14:15], v[214:215]
	v_fma_f64 v[72:73], v[162:163], s[4:5], v[72:73]
	;; [unrolled: 1-line block ×7, first 2 shown]
	v_mul_f64 v[72:73], v[56:57], s[18:19]
	v_fma_f64 v[176:177], v[228:229], s[4:5], v[176:177]
	v_fma_f64 v[58:59], v[58:59], s[18:19], v[176:177]
	v_fma_f64 v[176:177], v[58:59], s[14:15], -v[72:73]
	v_mul_f64 v[58:59], v[58:59], s[18:19]
	v_add_f64 v[72:73], v[158:159], v[176:177]
	v_fma_f64 v[58:59], v[56:57], s[12:13], -v[58:59]
	v_add_f64 v[56:57], v[158:159], -v[176:177]
	v_fma_f64 v[158:159], v[226:227], s[12:13], v[206:207]
	v_mov_b32_e32 v227, 4
	v_add_f64 v[74:75], v[166:167], v[58:59]
	v_add_f64 v[58:59], v[166:167], -v[58:59]
	v_fma_f64 v[166:167], v[228:229], s[14:15], v[216:217]
	v_fma_f64 v[158:159], v[220:221], s[0:1], v[158:159]
	;; [unrolled: 1-line block ×5, first 2 shown]
	v_mul_f64 v[160:161], v[156:157], s[20:21]
	v_fma_f64 v[160:161], v[158:159], s[4:5], -v[160:161]
	v_mul_f64 v[158:159], v[158:159], s[20:21]
	v_fma_f64 v[162:163], v[156:157], s[0:1], -v[158:159]
	v_add_f64 v[156:157], v[76:77], v[160:161]
	v_add_f64 v[76:77], v[76:77], -v[160:161]
	buffer_load_dword v161, off, s[24:27], 0 ; 4-byte Folded Reload
	s_waitcnt vmcnt(0)
	s_barrier
	buffer_gl0_inv
	v_add_f64 v[158:159], v[78:79], v[162:163]
	v_add_f64 v[78:79], v[78:79], -v[162:163]
	v_mul_lo_u16 v160, v161, 10
	v_add_co_u32 v226, s22, v161, 60
	v_add_co_u32 v204, null, 0x78, v161
	v_lshlrev_b32_sdwa v160, v227, v160 dst_sel:DWORD dst_unused:UNUSED_PAD src0_sel:DWORD src1_sel:WORD_0
	ds_write_b128 v160, v[84:87]
	ds_write_b128 v160, v[92:95] offset:16
	ds_write_b128 v160, v[104:107] offset:32
	;; [unrolled: 1-line block ×8, first 2 shown]
	v_mul_u32_u24_e32 v80, 10, v226
	v_add_f64 v[82:83], v[8:9], v[36:37]
	v_add_f64 v[84:85], v[10:11], v[38:39]
	;; [unrolled: 1-line block ×3, first 2 shown]
	v_add_f64 v[88:89], v[10:11], -v[38:39]
	v_lshlrev_b32_e32 v107, 4, v80
	v_add_f64 v[80:81], v[16:17], v[24:25]
	v_add_f64 v[90:91], v[18:19], -v[26:27]
	v_mul_u32_u24_e32 v106, 10, v204
	buffer_store_dword v160, off, s[24:27], 0 offset:648 ; 4-byte Folded Spill
	ds_write_b128 v160, v[128:131] offset:144
	ds_write_b128 v107, v[124:127]
	ds_write_b128 v107, v[140:143] offset:16
	ds_write_b128 v107, v[148:151] offset:32
	;; [unrolled: 1-line block ×3, first 2 shown]
	v_lshlrev_b32_e32 v239, 4, v106
	ds_write_b128 v107, v[152:155] offset:64
	ds_write_b128 v107, v[96:99] offset:80
	v_add_f64 v[92:93], v[16:17], -v[24:25]
	ds_write_b128 v107, v[108:111] offset:96
	v_add_f64 v[94:95], v[8:9], -v[16:17]
	v_add_f64 v[96:97], v[36:37], -v[24:25]
	ds_write_b128 v107, v[112:115] offset:112
	v_add_f64 v[98:99], v[16:17], -v[8:9]
	v_add_f64 v[100:101], v[24:25], -v[36:37]
	v_fma_f64 v[82:83], v[82:83], -0.5, v[0:1]
	v_fma_f64 v[84:85], v[84:85], -0.5, v[2:3]
	;; [unrolled: 1-line block ×3, first 2 shown]
	ds_write_b128 v107, v[136:139] offset:128
	v_add_f64 v[102:103], v[18:19], -v[10:11]
	v_fma_f64 v[80:81], v[80:81], -0.5, v[0:1]
	v_add_f64 v[104:105], v[26:27], -v[38:39]
	ds_write_b128 v107, v[64:67] offset:144
	ds_write_b128 v239, v[68:71]
	v_add_f64 v[68:69], v[8:9], -v[36:37]
	buffer_store_dword v107, off, s[24:27], 0 offset:644 ; 4-byte Folded Spill
	v_add_f64 v[70:71], v[12:13], v[20:21]
	v_add_f64 v[112:113], v[4:5], -v[32:33]
	v_add_f64 v[116:117], v[34:35], -v[22:23]
	ds_write_b128 v239, v[52:55] offset:16
	ds_write_b128 v239, v[60:63] offset:32
	;; [unrolled: 1-line block ×3, first 2 shown]
	v_add_co_u32 v228, null, 0xb4, v161
	v_add_f64 v[94:95], v[94:95], v[96:97]
	ds_write_b128 v239, v[156:159] offset:64
	v_add_f64 v[98:99], v[98:99], v[100:101]
	v_add_f64 v[100:101], v[4:5], v[32:33]
	v_fma_f64 v[96:97], v[92:93], s[14:15], v[84:85]
	v_fma_f64 v[84:85], v[92:93], s[12:13], v[84:85]
	;; [unrolled: 1-line block ×6, first 2 shown]
	v_add_f64 v[102:103], v[102:103], v[104:105]
	v_add_f64 v[104:105], v[10:11], -v[18:19]
	v_fma_f64 v[70:71], v[70:71], -0.5, v[28:29]
	v_fma_f64 v[100:101], v[100:101], -0.5, v[28:29]
	v_fma_f64 v[96:97], v[68:69], s[0:1], v[96:97]
	v_fma_f64 v[64:65], v[90:91], s[4:5], v[64:65]
	;; [unrolled: 1-line block ×3, first 2 shown]
	v_add_f64 v[90:91], v[38:39], -v[26:27]
	v_fma_f64 v[80:81], v[88:89], s[0:1], v[80:81]
	v_fma_f64 v[82:83], v[88:89], s[4:5], v[82:83]
	v_fma_f64 v[88:89], v[68:69], s[14:15], v[86:87]
	v_fma_f64 v[86:87], v[68:69], s[12:13], v[86:87]
	v_fma_f64 v[68:69], v[68:69], s[4:5], v[84:85]
	v_add_f64 v[84:85], v[6:7], -v[34:35]
	v_fma_f64 v[96:97], v[102:103], s[18:19], v[96:97]
	v_fma_f64 v[106:107], v[94:95], s[18:19], v[64:65]
	v_add_f64 v[64:65], v[32:33], -v[20:21]
	v_add_f64 v[90:91], v[104:105], v[90:91]
	v_add_f64 v[104:105], v[14:15], -v[22:23]
	v_fma_f64 v[108:109], v[94:95], s[18:19], v[66:67]
	v_fma_f64 v[88:89], v[92:93], s[4:5], v[88:89]
	;; [unrolled: 1-line block ×3, first 2 shown]
	v_add_f64 v[92:93], v[4:5], -v[12:13]
	v_fma_f64 v[94:95], v[98:99], s[18:19], v[80:81]
	v_fma_f64 v[98:99], v[98:99], s[18:19], v[82:83]
	;; [unrolled: 1-line block ×9, first 2 shown]
	v_add_f64 v[80:81], v[92:93], v[64:65]
	v_add_f64 v[64:65], v[12:13], -v[4:5]
	v_add_f64 v[92:93], v[20:21], -v[32:33]
	v_mul_f64 v[90:91], v[98:99], s[12:13]
	v_fma_f64 v[66:67], v[104:105], s[4:5], v[66:67]
	v_fma_f64 v[70:71], v[104:105], s[0:1], v[70:71]
	v_add_f64 v[104:105], v[12:13], -v[20:21]
	v_fma_f64 v[68:69], v[84:85], s[4:5], v[68:69]
	v_fma_f64 v[82:83], v[84:85], s[0:1], v[82:83]
	v_add_f64 v[84:85], v[22:23], -v[34:35]
	v_add_f64 v[92:93], v[64:65], v[92:93]
	v_add_f64 v[64:65], v[14:15], -v[6:7]
	v_fma_f64 v[70:71], v[80:81], s[18:19], v[70:71]
	v_add_f64 v[100:101], v[64:65], v[84:85]
	v_add_f64 v[64:65], v[14:15], v[22:23]
	;; [unrolled: 1-line block ×3, first 2 shown]
	v_fma_f64 v[64:65], v[64:65], -0.5, v[30:31]
	v_fma_f64 v[84:85], v[84:85], -0.5, v[30:31]
	v_fma_f64 v[114:115], v[112:113], s[12:13], v[64:65]
	v_fma_f64 v[64:65], v[112:113], s[14:15], v[64:65]
	;; [unrolled: 1-line block ×9, first 2 shown]
	v_mul_f64 v[80:81], v[106:107], s[20:21]
	v_mul_f64 v[82:83], v[106:107], s[0:1]
	v_fma_f64 v[110:111], v[112:113], s[0:1], v[110:111]
	v_fma_f64 v[112:113], v[112:113], s[4:5], v[84:85]
	v_add_f64 v[84:85], v[6:7], -v[14:15]
	v_fma_f64 v[92:93], v[96:97], s[18:19], v[90:91]
	v_mul_f64 v[90:91], v[94:95], s[18:19]
	v_fma_f64 v[80:81], v[88:89], s[4:5], v[80:81]
	v_fma_f64 v[88:89], v[88:89], s[20:21], v[82:83]
	v_mul_f64 v[82:83], v[96:97], s[14:15]
	v_mul_f64 v[96:97], v[102:103], s[18:19]
	v_add_f64 v[116:117], v[84:85], v[116:117]
	v_fma_f64 v[84:85], v[100:101], s[18:19], v[110:111]
	v_fma_f64 v[90:91], v[102:103], s[14:15], -v[90:91]
	v_mul_f64 v[102:103], v[118:119], s[20:21]
	v_fma_f64 v[86:87], v[100:101], s[18:19], v[112:113]
	v_fma_f64 v[82:83], v[98:99], s[18:19], v[82:83]
	v_fma_f64 v[98:99], v[94:95], s[12:13], -v[96:97]
	v_mul_f64 v[96:97], v[108:109], s[20:21]
	v_fma_f64 v[94:95], v[116:117], s[18:19], v[114:115]
	v_fma_f64 v[100:101], v[116:117], s[18:19], v[104:105]
	v_fma_f64 v[102:103], v[108:109], s[0:1], -v[102:103]
	v_add_f64 v[104:105], v[64:65], -v[80:81]
	v_add_f64 v[72:73], v[68:69], -v[90:91]
	;; [unrolled: 1-line block ×5, first 2 shown]
	v_fma_f64 v[96:97], v[118:119], s[4:5], -v[96:97]
	v_add_f64 v[106:107], v[94:95], -v[88:89]
	buffer_store_dword v104, off, s[24:27], 0 offset:36 ; 4-byte Folded Spill
	buffer_store_dword v105, off, s[24:27], 0 offset:40 ; 4-byte Folded Spill
	;; [unrolled: 1-line block ×4, first 2 shown]
	v_add_f64 v[52:53], v[70:71], -v[96:97]
	v_add_f64 v[54:55], v[100:101], -v[102:103]
	buffer_store_dword v60, off, s[24:27], 0 offset:20 ; 4-byte Folded Spill
	buffer_store_dword v61, off, s[24:27], 0 offset:24 ; 4-byte Folded Spill
	;; [unrolled: 1-line block ×12, first 2 shown]
	ds_write_b128 v239, v[40:43] offset:80
	v_mul_u32_u24_e32 v40, 10, v228
	v_add_co_ci_u32_e64 v52, null, 0, 0, s22
	buffer_store_dword v40, off, s[24:27], 0 offset:1860 ; 4-byte Folded Spill
	ds_write_b128 v239, v[44:47] offset:96
	ds_write_b128 v239, v[48:51] offset:112
	;; [unrolled: 1-line block ×4, first 2 shown]
	s_and_saveexec_b32 s0, vcc_lo
	s_cbranch_execz .LBB0_7
; %bb.6:
	v_add_f64 v[6:7], v[30:31], v[6:7]
	v_add_f64 v[2:3], v[2:3], v[10:11]
	;; [unrolled: 1-line block ×24, first 2 shown]
	v_add_f64 v[18:19], v[16:17], -v[20:21]
	v_add_f64 v[22:23], v[16:17], v[20:21]
	v_add_f64 v[20:21], v[24:25], v[26:27]
	v_add_f64 v[16:17], v[24:25], -v[26:27]
	s_clause 0x3
	buffer_load_dword v25, off, s[24:27], 0 offset:36
	buffer_load_dword v26, off, s[24:27], 0 offset:40
	buffer_load_dword v27, off, s[24:27], 0 offset:44
	buffer_load_dword v28, off, s[24:27], 0 offset:48
	v_mul_u32_u24_e32 v24, 10, v228
	v_lshlrev_b32_e32 v24, 4, v24
	s_waitcnt vmcnt(0)
	ds_write_b128 v24, v[25:28] offset:96
	s_clause 0x3
	buffer_load_dword v25, off, s[24:27], 0 offset:20
	buffer_load_dword v26, off, s[24:27], 0 offset:24
	;; [unrolled: 1-line block ×4, first 2 shown]
	s_waitcnt vmcnt(0)
	ds_write_b128 v24, v[25:28] offset:112
	s_clause 0x3
	buffer_load_dword v25, off, s[24:27], 0 offset:52
	buffer_load_dword v26, off, s[24:27], 0 offset:56
	;; [unrolled: 1-line block ×4, first 2 shown]
	s_waitcnt vmcnt(0)
	ds_write_b128 v24, v[25:28] offset:128
	ds_write_b128 v24, v[12:15] offset:16
	;; [unrolled: 1-line block ×5, first 2 shown]
	ds_write_b128 v24, v[20:23]
	ds_write_b128 v24, v[16:19] offset:80
	s_clause 0x3
	buffer_load_dword v0, off, s[24:27], 0 offset:4
	buffer_load_dword v1, off, s[24:27], 0 offset:8
	;; [unrolled: 1-line block ×4, first 2 shown]
	s_waitcnt vmcnt(0)
	ds_write_b128 v24, v[0:3] offset:144
.LBB0_7:
	s_or_b32 exec_lo, exec_lo, s0
	s_waitcnt lgkmcnt(0)
	s_waitcnt_vscnt null, 0x0
	s_barrier
	buffer_gl0_inv
	ds_read_b128 v[20:23], v238
	ds_read_b128 v[124:127], v238 offset:5760
	ds_read_b128 v[128:131], v238 offset:11520
	;; [unrolled: 1-line block ×23, first 2 shown]
	buffer_load_dword v0, off, s[24:27], 0  ; 4-byte Folded Reload
	ds_read_b128 v[4:7], v238 offset:3840
	ds_read_b128 v[60:63], v238 offset:9600
	;; [unrolled: 1-line block ×6, first 2 shown]
	v_and_b32_e32 v205, 0xff, v204
	v_and_b32_e32 v231, 0xff, v228
	s_mov_b32 s14, 0xe8584caa
	s_mov_b32 s15, 0x3febb67a
	;; [unrolled: 1-line block ×4, first 2 shown]
	s_add_u32 s4, s16, 0x8700
	s_addc_u32 s5, s17, 0
	s_waitcnt vmcnt(0)
	v_mov_b32_e32 v136, v0
	v_add_nc_u32_e32 v230, 0xf0, v0
	v_add_nc_u32_e32 v229, 0x12c, v0
	ds_read_b128 v[0:3], v238 offset:4800
	ds_read_b128 v[40:43], v238 offset:10560
	;; [unrolled: 1-line block ×6, first 2 shown]
	v_mov_b32_e32 v137, v136
	v_and_b32_e32 v136, 0xff, v137
	v_mov_b32_e32 v218, v137
	v_mul_lo_u16 v136, 0xcd, v136
	v_lshrrev_b16 v206, 11, v136
	v_mul_lo_u16 v136, v206, 10
	v_sub_nc_u16 v136, v137, v136
	v_and_b32_e32 v207, 0xff, v136
	v_mad_u64_u32 v[146:147], null, 0x50, v207, s[2:3]
	s_clause 0x3
	global_load_dwordx4 v[148:151], v[146:147], off offset:48
	global_load_dwordx4 v[152:155], v[146:147], off offset:32
	;; [unrolled: 1-line block ×3, first 2 shown]
	global_load_dwordx4 v[162:165], v[146:147], off
	s_waitcnt vmcnt(0) lgkmcnt(34)
	v_mul_f64 v[136:137], v[126:127], v[164:165]
	v_fma_f64 v[136:137], v[124:125], v[162:163], -v[136:137]
	v_mul_f64 v[124:125], v[124:125], v[164:165]
	buffer_store_dword v162, off, s[24:27], 0 offset:716 ; 4-byte Folded Spill
	buffer_store_dword v163, off, s[24:27], 0 offset:720 ; 4-byte Folded Spill
	buffer_store_dword v164, off, s[24:27], 0 offset:724 ; 4-byte Folded Spill
	buffer_store_dword v165, off, s[24:27], 0 offset:728 ; 4-byte Folded Spill
	v_fma_f64 v[126:127], v[126:127], v[162:163], v[124:125]
	s_waitcnt lgkmcnt(33)
	v_mul_f64 v[124:125], v[130:131], v[160:161]
	v_fma_f64 v[156:157], v[128:129], v[158:159], -v[124:125]
	v_mul_f64 v[124:125], v[128:129], v[160:161]
	buffer_store_dword v158, off, s[24:27], 0 offset:684 ; 4-byte Folded Spill
	buffer_store_dword v159, off, s[24:27], 0 offset:688 ; 4-byte Folded Spill
	buffer_store_dword v160, off, s[24:27], 0 offset:692 ; 4-byte Folded Spill
	buffer_store_dword v161, off, s[24:27], 0 offset:696 ; 4-byte Folded Spill
	v_fma_f64 v[158:159], v[130:131], v[158:159], v[124:125]
	s_waitcnt lgkmcnt(32)
	;; [unrolled: 9-line block ×3, first 2 shown]
	v_mul_f64 v[124:125], v[140:141], v[150:151]
	v_fma_f64 v[160:161], v[138:139], v[148:149], -v[124:125]
	v_mul_f64 v[124:125], v[138:139], v[150:151]
	buffer_store_dword v148, off, s[24:27], 0 offset:652 ; 4-byte Folded Spill
	buffer_store_dword v149, off, s[24:27], 0 offset:656 ; 4-byte Folded Spill
	;; [unrolled: 1-line block ×4, first 2 shown]
	v_fma_f64 v[162:163], v[140:141], v[148:149], v[124:125]
	global_load_dwordx4 v[138:141], v[146:147], off offset:64
	s_waitcnt vmcnt(0) lgkmcnt(30)
	v_mul_f64 v[124:125], v[144:145], v[140:141]
	v_fma_f64 v[132:133], v[142:143], v[138:139], -v[124:125]
	v_mul_f64 v[124:125], v[142:143], v[140:141]
	buffer_store_dword v138, off, s[24:27], 0 offset:700 ; 4-byte Folded Spill
	buffer_store_dword v139, off, s[24:27], 0 offset:704 ; 4-byte Folded Spill
	;; [unrolled: 1-line block ×4, first 2 shown]
	v_fma_f64 v[134:135], v[144:145], v[138:139], v[124:125]
	v_and_b32_e32 v124, 0xff, v226
	v_mul_lo_u16 v124, 0xcd, v124
	v_lshrrev_b16 v208, 11, v124
	v_mul_lo_u16 v124, v208, 10
	v_sub_nc_u16 v124, v226, v124
	v_and_b32_e32 v209, 0xff, v124
	v_mad_u64_u32 v[140:141], null, 0x50, v209, s[2:3]
	s_clause 0x3
	global_load_dwordx4 v[150:153], v[140:141], off offset:48
	global_load_dwordx4 v[146:149], v[140:141], off offset:32
	;; [unrolled: 1-line block ×3, first 2 shown]
	global_load_dwordx4 v[164:167], v[140:141], off
	s_waitcnt vmcnt(0) lgkmcnt(28)
	v_mul_f64 v[124:125], v[122:123], v[166:167]
	v_fma_f64 v[124:125], v[120:121], v[164:165], -v[124:125]
	v_mul_f64 v[120:121], v[120:121], v[166:167]
	buffer_store_dword v164, off, s[24:27], 0 offset:796 ; 4-byte Folded Spill
	buffer_store_dword v165, off, s[24:27], 0 offset:800 ; 4-byte Folded Spill
	buffer_store_dword v166, off, s[24:27], 0 offset:804 ; 4-byte Folded Spill
	buffer_store_dword v167, off, s[24:27], 0 offset:808 ; 4-byte Folded Spill
	v_fma_f64 v[120:121], v[122:123], v[164:165], v[120:121]
	s_waitcnt lgkmcnt(27)
	v_mul_f64 v[122:123], v[118:119], v[144:145]
	v_fma_f64 v[138:139], v[116:117], v[142:143], -v[122:123]
	v_mul_f64 v[116:117], v[116:117], v[144:145]
	buffer_store_dword v142, off, s[24:27], 0 offset:764 ; 4-byte Folded Spill
	buffer_store_dword v143, off, s[24:27], 0 offset:768 ; 4-byte Folded Spill
	buffer_store_dword v144, off, s[24:27], 0 offset:772 ; 4-byte Folded Spill
	buffer_store_dword v145, off, s[24:27], 0 offset:776 ; 4-byte Folded Spill
	v_fma_f64 v[144:145], v[118:119], v[142:143], v[116:117]
	s_waitcnt lgkmcnt(26)
	v_mul_f64 v[116:117], v[114:115], v[148:149]
	v_fma_f64 v[116:117], v[112:113], v[146:147], -v[116:117]
	v_mul_f64 v[112:113], v[112:113], v[148:149]
	buffer_store_dword v146, off, s[24:27], 0 offset:748 ; 4-byte Folded Spill
	buffer_store_dword v147, off, s[24:27], 0 offset:752 ; 4-byte Folded Spill
	buffer_store_dword v148, off, s[24:27], 0 offset:756 ; 4-byte Folded Spill
	buffer_store_dword v149, off, s[24:27], 0 offset:760 ; 4-byte Folded Spill
	v_fma_f64 v[112:113], v[114:115], v[146:147], v[112:113]
	s_waitcnt lgkmcnt(25)
	v_mul_f64 v[114:115], v[110:111], v[152:153]
	v_fma_f64 v[148:149], v[108:109], v[150:151], -v[114:115]
	v_mul_f64 v[108:109], v[108:109], v[152:153]
	buffer_store_dword v150, off, s[24:27], 0 offset:732 ; 4-byte Folded Spill
	buffer_store_dword v151, off, s[24:27], 0 offset:736 ; 4-byte Folded Spill
	;; [unrolled: 1-line block ×4, first 2 shown]
	global_load_dwordx4 v[140:143], v[140:141], off offset:64
	v_fma_f64 v[152:153], v[110:111], v[150:151], v[108:109]
	s_waitcnt vmcnt(0) lgkmcnt(24)
	v_mul_f64 v[108:109], v[106:107], v[142:143]
	v_fma_f64 v[108:109], v[104:105], v[140:141], -v[108:109]
	v_mul_f64 v[104:105], v[104:105], v[142:143]
	buffer_store_dword v140, off, s[24:27], 0 offset:780 ; 4-byte Folded Spill
	buffer_store_dword v141, off, s[24:27], 0 offset:784 ; 4-byte Folded Spill
	;; [unrolled: 1-line block ×4, first 2 shown]
	v_fma_f64 v[106:107], v[106:107], v[140:141], v[104:105]
	v_mul_lo_u16 v104, 0xcd, v205
	v_lshrrev_b16 v210, 11, v104
	v_mul_lo_u16 v104, v210, 10
	v_sub_nc_u16 v104, v204, v104
	v_and_b32_e32 v211, 0xff, v104
	v_mad_u64_u32 v[110:111], null, 0x50, v211, s[2:3]
	s_clause 0x3
	global_load_dwordx4 v[140:143], v[110:111], off offset:48
	global_load_dwordx4 v[164:167], v[110:111], off offset:32
	;; [unrolled: 1-line block ×3, first 2 shown]
	global_load_dwordx4 v[172:175], v[110:111], off
	s_waitcnt vmcnt(0) lgkmcnt(22)
	v_mul_f64 v[104:105], v[102:103], v[174:175]
	v_fma_f64 v[104:105], v[100:101], v[172:173], -v[104:105]
	v_mul_f64 v[100:101], v[100:101], v[174:175]
	buffer_store_dword v172, off, s[24:27], 0 offset:876 ; 4-byte Folded Spill
	buffer_store_dword v173, off, s[24:27], 0 offset:880 ; 4-byte Folded Spill
	buffer_store_dword v174, off, s[24:27], 0 offset:884 ; 4-byte Folded Spill
	buffer_store_dword v175, off, s[24:27], 0 offset:888 ; 4-byte Folded Spill
	v_fma_f64 v[100:101], v[102:103], v[172:173], v[100:101]
	s_waitcnt lgkmcnt(21)
	v_mul_f64 v[102:103], v[98:99], v[170:171]
	v_fma_f64 v[114:115], v[96:97], v[168:169], -v[102:103]
	v_mul_f64 v[96:97], v[96:97], v[170:171]
	buffer_store_dword v168, off, s[24:27], 0 offset:844 ; 4-byte Folded Spill
	buffer_store_dword v169, off, s[24:27], 0 offset:848 ; 4-byte Folded Spill
	buffer_store_dword v170, off, s[24:27], 0 offset:852 ; 4-byte Folded Spill
	buffer_store_dword v171, off, s[24:27], 0 offset:856 ; 4-byte Folded Spill
	v_fma_f64 v[118:119], v[98:99], v[168:169], v[96:97]
	s_waitcnt lgkmcnt(20)
	;; [unrolled: 9-line block ×3, first 2 shown]
	v_mul_f64 v[94:95], v[90:91], v[142:143]
	v_fma_f64 v[122:123], v[88:89], v[140:141], -v[94:95]
	v_mul_f64 v[88:89], v[88:89], v[142:143]
	buffer_store_dword v140, off, s[24:27], 0 offset:812 ; 4-byte Folded Spill
	buffer_store_dword v141, off, s[24:27], 0 offset:816 ; 4-byte Folded Spill
	;; [unrolled: 1-line block ×4, first 2 shown]
	global_load_dwordx4 v[164:167], v[110:111], off offset:64
	v_fma_f64 v[140:141], v[90:91], v[140:141], v[88:89]
	s_waitcnt vmcnt(0) lgkmcnt(18)
	v_mul_f64 v[88:89], v[86:87], v[166:167]
	v_fma_f64 v[88:89], v[84:85], v[164:165], -v[88:89]
	v_mul_f64 v[84:85], v[84:85], v[166:167]
	buffer_store_dword v164, off, s[24:27], 0 offset:860 ; 4-byte Folded Spill
	buffer_store_dword v165, off, s[24:27], 0 offset:864 ; 4-byte Folded Spill
	;; [unrolled: 1-line block ×4, first 2 shown]
	v_fma_f64 v[86:87], v[86:87], v[164:165], v[84:85]
	v_mul_lo_u16 v84, 0xcd, v231
	v_lshrrev_b16 v212, 11, v84
	v_mul_lo_u16 v84, v212, 10
	v_sub_nc_u16 v84, v228, v84
	v_and_b32_e32 v213, 0xff, v84
	v_mad_u64_u32 v[98:99], null, 0x50, v213, s[2:3]
	s_clause 0x3
	global_load_dwordx4 v[164:167], v[98:99], off offset:48
	global_load_dwordx4 v[168:171], v[98:99], off offset:32
	;; [unrolled: 1-line block ×3, first 2 shown]
	global_load_dwordx4 v[176:179], v[98:99], off
	s_waitcnt vmcnt(0) lgkmcnt(16)
	v_mul_f64 v[84:85], v[82:83], v[178:179]
	v_fma_f64 v[110:111], v[80:81], v[176:177], -v[84:85]
	v_mul_f64 v[80:81], v[80:81], v[178:179]
	buffer_store_dword v176, off, s[24:27], 0 offset:956 ; 4-byte Folded Spill
	buffer_store_dword v177, off, s[24:27], 0 offset:960 ; 4-byte Folded Spill
	buffer_store_dword v178, off, s[24:27], 0 offset:964 ; 4-byte Folded Spill
	buffer_store_dword v179, off, s[24:27], 0 offset:968 ; 4-byte Folded Spill
	v_fma_f64 v[84:85], v[82:83], v[176:177], v[80:81]
	s_waitcnt lgkmcnt(15)
	v_mul_f64 v[80:81], v[78:79], v[174:175]
	v_fma_f64 v[142:143], v[76:77], v[172:173], -v[80:81]
	v_mul_f64 v[76:77], v[76:77], v[174:175]
	buffer_store_dword v172, off, s[24:27], 0 offset:924 ; 4-byte Folded Spill
	buffer_store_dword v173, off, s[24:27], 0 offset:928 ; 4-byte Folded Spill
	buffer_store_dword v174, off, s[24:27], 0 offset:932 ; 4-byte Folded Spill
	buffer_store_dword v175, off, s[24:27], 0 offset:936 ; 4-byte Folded Spill
	v_fma_f64 v[146:147], v[78:79], v[172:173], v[76:77]
	s_waitcnt lgkmcnt(14)
	;; [unrolled: 9-line block ×3, first 2 shown]
	v_mul_f64 v[72:73], v[70:71], v[166:167]
	v_fma_f64 v[150:151], v[68:69], v[164:165], -v[72:73]
	v_mul_f64 v[68:69], v[68:69], v[166:167]
	buffer_store_dword v164, off, s[24:27], 0 offset:892 ; 4-byte Folded Spill
	buffer_store_dword v165, off, s[24:27], 0 offset:896 ; 4-byte Folded Spill
	;; [unrolled: 1-line block ×4, first 2 shown]
	v_fma_f64 v[154:155], v[70:71], v[164:165], v[68:69]
	global_load_dwordx4 v[70:73], v[98:99], off offset:64
	s_waitcnt vmcnt(0) lgkmcnt(12)
	v_mul_f64 v[68:69], v[66:67], v[72:73]
	v_fma_f64 v[98:99], v[64:65], v[70:71], -v[68:69]
	v_mul_f64 v[64:65], v[64:65], v[72:73]
	buffer_store_dword v70, off, s[24:27], 0 offset:940 ; 4-byte Folded Spill
	buffer_store_dword v71, off, s[24:27], 0 offset:944 ; 4-byte Folded Spill
	;; [unrolled: 1-line block ×4, first 2 shown]
	v_mov_b32_e32 v68, 0xcccd
	v_fma_f64 v[102:103], v[66:67], v[70:71], v[64:65]
	v_mul_u32_u24_sdwa v64, v230, v68 dst_sel:DWORD dst_unused:UNUSED_PAD src0_sel:WORD_0 src1_sel:DWORD
	v_lshrrev_b32_e32 v214, 19, v64
	v_mul_lo_u16 v64, v214, 10
	v_sub_nc_u16 v215, v230, v64
	v_mul_lo_u16 v64, 0x50, v215
	v_and_b32_e32 v64, 0xffff, v64
	v_add_co_u32 v64, s0, s2, v64
	v_add_co_ci_u32_e64 v65, null, s3, 0, s0
	s_clause 0x3
	global_load_dwordx4 v[69:72], v[64:65], off offset:48
	global_load_dwordx4 v[73:76], v[64:65], off offset:32
	;; [unrolled: 1-line block ×3, first 2 shown]
	global_load_dwordx4 v[164:167], v[64:65], off
	s_waitcnt vmcnt(0) lgkmcnt(10)
	v_mul_f64 v[66:67], v[62:63], v[166:167]
	v_fma_f64 v[176:177], v[60:61], v[164:165], -v[66:67]
	v_mul_f64 v[60:61], v[60:61], v[166:167]
	buffer_store_dword v164, off, s[24:27], 0 offset:1020 ; 4-byte Folded Spill
	buffer_store_dword v165, off, s[24:27], 0 offset:1024 ; 4-byte Folded Spill
	buffer_store_dword v166, off, s[24:27], 0 offset:1028 ; 4-byte Folded Spill
	buffer_store_dword v167, off, s[24:27], 0 offset:1032 ; 4-byte Folded Spill
	v_fma_f64 v[172:173], v[62:63], v[164:165], v[60:61]
	s_waitcnt lgkmcnt(9)
	v_mul_f64 v[60:61], v[58:59], v[79:80]
	v_fma_f64 v[196:197], v[56:57], v[77:78], -v[60:61]
	v_mul_f64 v[56:57], v[56:57], v[79:80]
	buffer_store_dword v77, off, s[24:27], 0 offset:1004 ; 4-byte Folded Spill
	buffer_store_dword v78, off, s[24:27], 0 offset:1008 ; 4-byte Folded Spill
	buffer_store_dword v79, off, s[24:27], 0 offset:1012 ; 4-byte Folded Spill
	buffer_store_dword v80, off, s[24:27], 0 offset:1016 ; 4-byte Folded Spill
	v_fma_f64 v[198:199], v[58:59], v[77:78], v[56:57]
	s_waitcnt lgkmcnt(8)
	;; [unrolled: 9-line block ×3, first 2 shown]
	v_mul_f64 v[52:53], v[50:51], v[71:72]
	v_fma_f64 v[200:201], v[48:49], v[69:70], -v[52:53]
	v_mul_f64 v[48:49], v[48:49], v[71:72]
	buffer_store_dword v69, off, s[24:27], 0 offset:972 ; 4-byte Folded Spill
	buffer_store_dword v70, off, s[24:27], 0 offset:976 ; 4-byte Folded Spill
	;; [unrolled: 1-line block ×4, first 2 shown]
	v_fma_f64 v[202:203], v[50:51], v[69:70], v[48:49]
	global_load_dwordx4 v[50:53], v[64:65], off offset:64
	s_waitcnt vmcnt(0) lgkmcnt(6)
	v_mul_f64 v[48:49], v[46:47], v[52:53]
	v_fma_f64 v[192:193], v[44:45], v[50:51], -v[48:49]
	v_mul_f64 v[44:45], v[44:45], v[52:53]
	buffer_store_dword v50, off, s[24:27], 0 offset:1036 ; 4-byte Folded Spill
	buffer_store_dword v51, off, s[24:27], 0 offset:1040 ; 4-byte Folded Spill
	;; [unrolled: 1-line block ×4, first 2 shown]
	v_fma_f64 v[194:195], v[46:47], v[50:51], v[44:45]
	v_mul_u32_u24_sdwa v44, v229, v68 dst_sel:DWORD dst_unused:UNUSED_PAD src0_sel:WORD_0 src1_sel:DWORD
	v_lshrrev_b32_e32 v216, 19, v44
	v_mul_lo_u16 v44, v216, 10
	v_sub_nc_u16 v217, v229, v44
	v_mul_lo_u16 v44, 0x50, v217
	v_and_b32_e32 v44, 0xffff, v44
	v_add_co_u32 v44, s0, s2, v44
	v_add_co_ci_u32_e64 v45, null, s3, 0, s0
	s_clause 0x3
	global_load_dwordx4 v[48:51], v[44:45], off offset:48
	global_load_dwordx4 v[52:55], v[44:45], off offset:32
	;; [unrolled: 1-line block ×3, first 2 shown]
	global_load_dwordx4 v[60:63], v[44:45], off
	s_waitcnt vmcnt(0) lgkmcnt(4)
	v_mul_f64 v[46:47], v[42:43], v[62:63]
	v_fma_f64 v[170:171], v[40:41], v[60:61], -v[46:47]
	v_mul_f64 v[40:41], v[40:41], v[62:63]
	buffer_store_dword v60, off, s[24:27], 0 offset:1100 ; 4-byte Folded Spill
	buffer_store_dword v61, off, s[24:27], 0 offset:1104 ; 4-byte Folded Spill
	buffer_store_dword v62, off, s[24:27], 0 offset:1108 ; 4-byte Folded Spill
	buffer_store_dword v63, off, s[24:27], 0 offset:1112 ; 4-byte Folded Spill
	v_fma_f64 v[164:165], v[42:43], v[60:61], v[40:41]
	s_waitcnt lgkmcnt(3)
	v_mul_f64 v[40:41], v[38:39], v[58:59]
	v_fma_f64 v[182:183], v[36:37], v[56:57], -v[40:41]
	v_mul_f64 v[36:37], v[36:37], v[58:59]
	buffer_store_dword v56, off, s[24:27], 0 offset:1084 ; 4-byte Folded Spill
	buffer_store_dword v57, off, s[24:27], 0 offset:1088 ; 4-byte Folded Spill
	buffer_store_dword v58, off, s[24:27], 0 offset:1092 ; 4-byte Folded Spill
	buffer_store_dword v59, off, s[24:27], 0 offset:1096 ; 4-byte Folded Spill
	v_fma_f64 v[186:187], v[38:39], v[56:57], v[36:37]
	s_waitcnt lgkmcnt(2)
	;; [unrolled: 9-line block ×3, first 2 shown]
	v_mul_f64 v[32:33], v[30:31], v[50:51]
	v_fma_f64 v[188:189], v[28:29], v[48:49], -v[32:33]
	v_mul_f64 v[28:29], v[28:29], v[50:51]
	buffer_store_dword v48, off, s[24:27], 0 offset:1052 ; 4-byte Folded Spill
	buffer_store_dword v49, off, s[24:27], 0 offset:1056 ; 4-byte Folded Spill
	;; [unrolled: 1-line block ×4, first 2 shown]
	v_fma_f64 v[190:191], v[30:31], v[48:49], v[28:29]
	global_load_dwordx4 v[30:33], v[44:45], off offset:64
	s_waitcnt vmcnt(0) lgkmcnt(0)
	v_mul_f64 v[28:29], v[26:27], v[32:33]
	v_fma_f64 v[180:181], v[24:25], v[30:31], -v[28:29]
	v_mul_f64 v[24:25], v[24:25], v[32:33]
	buffer_store_dword v30, off, s[24:27], 0 offset:1116 ; 4-byte Folded Spill
	buffer_store_dword v31, off, s[24:27], 0 offset:1120 ; 4-byte Folded Spill
	;; [unrolled: 1-line block ×4, first 2 shown]
	s_waitcnt_vscnt null, 0x0
	s_barrier
	buffer_gl0_inv
	v_fma_f64 v[184:185], v[26:27], v[30:31], v[24:25]
	v_add_f64 v[24:25], v[20:21], v[156:157]
	v_add_f64 v[32:33], v[24:25], v[160:161]
	;; [unrolled: 1-line block ×3, first 2 shown]
	v_fma_f64 v[20:21], v[24:25], -0.5, v[20:21]
	v_add_f64 v[24:25], v[158:159], -v[162:163]
	v_fma_f64 v[34:35], v[24:25], s[14:15], v[20:21]
	v_fma_f64 v[38:39], v[24:25], s[12:13], v[20:21]
	v_add_f64 v[20:21], v[22:23], v[158:159]
	v_add_f64 v[24:25], v[128:129], -v[132:133]
	v_add_f64 v[42:43], v[20:21], v[162:163]
	v_add_f64 v[20:21], v[158:159], v[162:163]
	v_fma_f64 v[20:21], v[20:21], -0.5, v[22:23]
	v_add_f64 v[22:23], v[156:157], -v[160:161]
	v_fma_f64 v[44:45], v[22:23], s[12:13], v[20:21]
	v_fma_f64 v[46:47], v[22:23], s[14:15], v[20:21]
	v_add_f64 v[20:21], v[136:137], v[128:129]
	v_add_f64 v[22:23], v[130:131], -v[134:135]
	v_add_f64 v[36:37], v[20:21], v[132:133]
	v_add_f64 v[20:21], v[128:129], v[132:133]
	;; [unrolled: 1-line block ×3, first 2 shown]
	v_fma_f64 v[20:21], v[20:21], -0.5, v[136:137]
	v_fma_f64 v[26:27], v[22:23], s[14:15], v[20:21]
	v_fma_f64 v[22:23], v[22:23], s[12:13], v[20:21]
	v_add_f64 v[20:21], v[126:127], v[130:131]
	v_add_f64 v[48:49], v[20:21], v[134:135]
	;; [unrolled: 1-line block ×4, first 2 shown]
	v_fma_f64 v[20:21], v[20:21], -0.5, v[126:127]
	v_add_f64 v[42:43], v[42:43], -v[48:49]
	v_fma_f64 v[40:41], v[24:25], s[12:13], v[20:21]
	v_fma_f64 v[50:51], v[24:25], s[14:15], v[20:21]
	v_mul_f64 v[20:21], v[40:41], s[14:15]
	v_fma_f64 v[52:53], v[26:27], 0.5, v[20:21]
	v_mul_f64 v[20:21], v[22:23], -0.5
	v_mul_f64 v[26:27], v[26:27], s[12:13]
	v_add_f64 v[24:25], v[34:35], v[52:53]
	v_fma_f64 v[54:55], v[50:51], s[14:15], v[20:21]
	v_fma_f64 v[56:57], v[40:41], 0.5, v[26:27]
	v_mul_f64 v[40:41], v[50:51], -0.5
	v_add_f64 v[20:21], v[38:39], v[54:55]
	v_add_f64 v[26:27], v[44:45], v[56:57]
	v_fma_f64 v[50:51], v[22:23], s[12:13], v[40:41]
	v_add_f64 v[40:41], v[32:33], -v[36:37]
	v_add_f64 v[32:33], v[38:39], -v[54:55]
	;; [unrolled: 1-line block ×3, first 2 shown]
	v_add_f64 v[44:45], v[16:17], v[138:139]
	v_add_f64 v[36:37], v[34:35], -v[52:53]
	v_add_f64 v[22:23], v[46:47], v[50:51]
	v_add_f64 v[34:35], v[46:47], -v[50:51]
	v_add_f64 v[52:53], v[44:45], v[148:149]
	v_add_f64 v[44:45], v[138:139], v[148:149]
	v_fma_f64 v[16:17], v[44:45], -0.5, v[16:17]
	v_add_f64 v[44:45], v[144:145], -v[152:153]
	v_fma_f64 v[54:55], v[44:45], s[14:15], v[16:17]
	v_fma_f64 v[58:59], v[44:45], s[12:13], v[16:17]
	v_add_f64 v[16:17], v[18:19], v[144:145]
	v_add_f64 v[44:45], v[116:117], -v[108:109]
	v_add_f64 v[62:63], v[16:17], v[152:153]
	v_add_f64 v[16:17], v[144:145], v[152:153]
	v_fma_f64 v[16:17], v[16:17], -0.5, v[18:19]
	v_add_f64 v[18:19], v[138:139], -v[148:149]
	v_fma_f64 v[64:65], v[18:19], s[12:13], v[16:17]
	v_fma_f64 v[66:67], v[18:19], s[14:15], v[16:17]
	v_add_f64 v[16:17], v[124:125], v[116:117]
	v_add_f64 v[18:19], v[112:113], -v[106:107]
	v_add_f64 v[56:57], v[16:17], v[108:109]
	v_add_f64 v[16:17], v[116:117], v[108:109]
	;; [unrolled: 1-line block ×3, first 2 shown]
	v_fma_f64 v[16:17], v[16:17], -0.5, v[124:125]
	v_fma_f64 v[46:47], v[18:19], s[14:15], v[16:17]
	v_fma_f64 v[18:19], v[18:19], s[12:13], v[16:17]
	v_add_f64 v[16:17], v[120:121], v[112:113]
	v_add_f64 v[68:69], v[16:17], v[106:107]
	;; [unrolled: 1-line block ×4, first 2 shown]
	v_fma_f64 v[16:17], v[16:17], -0.5, v[120:121]
	v_add_f64 v[62:63], v[62:63], -v[68:69]
	v_fma_f64 v[60:61], v[44:45], s[12:13], v[16:17]
	v_fma_f64 v[70:71], v[44:45], s[14:15], v[16:17]
	v_mul_f64 v[16:17], v[60:61], s[14:15]
	v_fma_f64 v[72:73], v[46:47], 0.5, v[16:17]
	v_mul_f64 v[16:17], v[18:19], -0.5
	v_mul_f64 v[46:47], v[46:47], s[12:13]
	v_add_f64 v[44:45], v[54:55], v[72:73]
	v_fma_f64 v[74:75], v[70:71], s[14:15], v[16:17]
	v_fma_f64 v[76:77], v[60:61], 0.5, v[46:47]
	v_mul_f64 v[60:61], v[70:71], -0.5
	v_add_f64 v[16:17], v[58:59], v[74:75]
	v_add_f64 v[46:47], v[64:65], v[76:77]
	v_fma_f64 v[70:71], v[18:19], s[12:13], v[60:61]
	v_add_f64 v[60:61], v[52:53], -v[56:57]
	v_add_f64 v[52:53], v[58:59], -v[74:75]
	;; [unrolled: 1-line block ×3, first 2 shown]
	v_add_f64 v[64:65], v[12:13], v[114:115]
	v_add_f64 v[56:57], v[54:55], -v[72:73]
	v_add_f64 v[18:19], v[66:67], v[70:71]
	v_add_f64 v[54:55], v[66:67], -v[70:71]
	v_add_f64 v[72:73], v[64:65], v[122:123]
	v_add_f64 v[64:65], v[114:115], v[122:123]
	v_fma_f64 v[12:13], v[64:65], -0.5, v[12:13]
	v_add_f64 v[64:65], v[118:119], -v[140:141]
	v_fma_f64 v[74:75], v[64:65], s[14:15], v[12:13]
	v_fma_f64 v[78:79], v[64:65], s[12:13], v[12:13]
	v_add_f64 v[12:13], v[14:15], v[118:119]
	v_add_f64 v[82:83], v[12:13], v[140:141]
	v_add_f64 v[12:13], v[118:119], v[140:141]
	v_fma_f64 v[12:13], v[12:13], -0.5, v[14:15]
	v_add_f64 v[14:15], v[114:115], -v[122:123]
	v_fma_f64 v[106:107], v[14:15], s[12:13], v[12:13]
	v_fma_f64 v[108:109], v[14:15], s[14:15], v[12:13]
	v_add_f64 v[12:13], v[104:105], v[96:97]
	v_add_f64 v[14:15], v[92:93], -v[86:87]
	v_add_f64 v[76:77], v[12:13], v[88:89]
	v_add_f64 v[12:13], v[96:97], v[88:89]
	v_fma_f64 v[12:13], v[12:13], -0.5, v[104:105]
	v_fma_f64 v[66:67], v[14:15], s[14:15], v[12:13]
	v_fma_f64 v[70:71], v[14:15], s[12:13], v[12:13]
	v_add_f64 v[12:13], v[100:101], v[92:93]
	v_add_f64 v[14:15], v[96:97], -v[88:89]
	v_add_f64 v[104:105], v[12:13], v[86:87]
	v_add_f64 v[12:13], v[92:93], v[86:87]
	v_fma_f64 v[12:13], v[12:13], -0.5, v[100:101]
	v_fma_f64 v[80:81], v[14:15], s[12:13], v[12:13]
	v_fma_f64 v[86:87], v[14:15], s[14:15], v[12:13]
	v_add_f64 v[12:13], v[72:73], v[76:77]
	v_mul_f64 v[14:15], v[80:81], s[14:15]
	v_fma_f64 v[88:89], v[66:67], 0.5, v[14:15]
	v_mul_f64 v[66:67], v[66:67], s[12:13]
	v_mul_f64 v[14:15], v[70:71], -0.5
	v_add_f64 v[64:65], v[74:75], v[88:89]
	v_fma_f64 v[96:97], v[80:81], 0.5, v[66:67]
	v_mul_f64 v[80:81], v[86:87], -0.5
	v_fma_f64 v[92:93], v[86:87], s[14:15], v[14:15]
	v_add_f64 v[14:15], v[82:83], v[104:105]
	v_add_f64 v[82:83], v[82:83], -v[104:105]
	v_add_f64 v[66:67], v[106:107], v[96:97]
	v_fma_f64 v[86:87], v[70:71], s[12:13], v[80:81]
	v_add_f64 v[80:81], v[72:73], -v[76:77]
	v_add_f64 v[76:77], v[74:75], -v[88:89]
	v_add_f64 v[68:69], v[78:79], v[92:93]
	v_add_f64 v[72:73], v[78:79], -v[92:93]
	v_add_f64 v[78:79], v[106:107], -v[96:97]
	v_add_f64 v[70:71], v[108:109], v[86:87]
	v_add_f64 v[74:75], v[108:109], -v[86:87]
	v_add_f64 v[86:87], v[8:9], v[142:143]
	v_add_f64 v[92:93], v[86:87], v[150:151]
	v_add_f64 v[86:87], v[142:143], v[150:151]
	v_fma_f64 v[8:9], v[86:87], -0.5, v[8:9]
	v_add_f64 v[86:87], v[146:147], -v[154:155]
	v_fma_f64 v[96:97], v[86:87], s[14:15], v[8:9]
	v_fma_f64 v[104:105], v[86:87], s[12:13], v[8:9]
	v_add_f64 v[8:9], v[10:11], v[146:147]
	v_add_f64 v[106:107], v[8:9], v[154:155]
	;; [unrolled: 1-line block ×3, first 2 shown]
	v_fma_f64 v[8:9], v[8:9], -0.5, v[10:11]
	v_add_f64 v[10:11], v[142:143], -v[150:151]
	v_fma_f64 v[108:109], v[10:11], s[12:13], v[8:9]
	v_fma_f64 v[112:113], v[10:11], s[14:15], v[8:9]
	v_add_f64 v[8:9], v[110:111], v[90:91]
	v_add_f64 v[10:11], v[94:95], -v[102:103]
	v_add_f64 v[100:101], v[8:9], v[98:99]
	v_add_f64 v[8:9], v[90:91], v[98:99]
	v_fma_f64 v[8:9], v[8:9], -0.5, v[110:111]
	v_fma_f64 v[86:87], v[10:11], s[14:15], v[8:9]
	v_fma_f64 v[110:111], v[10:11], s[12:13], v[8:9]
	v_add_f64 v[8:9], v[84:85], v[94:95]
	v_add_f64 v[10:11], v[90:91], -v[98:99]
	v_add_f64 v[114:115], v[8:9], v[102:103]
	v_add_f64 v[8:9], v[94:95], v[102:103]
	v_fma_f64 v[8:9], v[8:9], -0.5, v[84:85]
	v_fma_f64 v[90:91], v[10:11], s[12:13], v[8:9]
	v_fma_f64 v[94:95], v[10:11], s[14:15], v[8:9]
	v_add_f64 v[8:9], v[92:93], v[100:101]
	v_add_f64 v[100:101], v[92:93], -v[100:101]
	v_mul_f64 v[10:11], v[90:91], s[14:15]
	v_fma_f64 v[98:99], v[86:87], 0.5, v[10:11]
	v_mul_f64 v[10:11], v[110:111], -0.5
	v_mul_f64 v[86:87], v[86:87], s[12:13]
	v_add_f64 v[84:85], v[96:97], v[98:99]
	v_fma_f64 v[102:103], v[94:95], s[14:15], v[10:11]
	v_fma_f64 v[116:117], v[90:91], 0.5, v[86:87]
	v_mul_f64 v[90:91], v[94:95], -0.5
	v_add_f64 v[10:11], v[106:107], v[114:115]
	v_add_f64 v[96:97], v[96:97], -v[98:99]
	v_add_f64 v[88:89], v[104:105], v[102:103]
	v_add_f64 v[92:93], v[104:105], -v[102:103]
	v_fma_f64 v[94:95], v[110:111], s[12:13], v[90:91]
	v_add_f64 v[104:105], v[4:5], v[196:197]
	v_add_f64 v[102:103], v[106:107], -v[114:115]
	v_add_f64 v[86:87], v[108:109], v[116:117]
	v_add_f64 v[98:99], v[108:109], -v[116:117]
	;; [unrolled: 2-line block ×3, first 2 shown]
	v_add_f64 v[112:113], v[104:105], v[200:201]
	v_add_f64 v[104:105], v[196:197], v[200:201]
	v_fma_f64 v[4:5], v[104:105], -0.5, v[4:5]
	v_add_f64 v[104:105], v[198:199], -v[202:203]
	v_fma_f64 v[114:115], v[104:105], s[14:15], v[4:5]
	v_fma_f64 v[118:119], v[104:105], s[12:13], v[4:5]
	v_add_f64 v[4:5], v[6:7], v[198:199]
	v_add_f64 v[122:123], v[4:5], v[202:203]
	;; [unrolled: 1-line block ×3, first 2 shown]
	v_fma_f64 v[4:5], v[4:5], -0.5, v[6:7]
	v_add_f64 v[6:7], v[196:197], -v[200:201]
	v_fma_f64 v[124:125], v[6:7], s[12:13], v[4:5]
	v_fma_f64 v[126:127], v[6:7], s[14:15], v[4:5]
	v_add_f64 v[4:5], v[176:177], v[174:175]
	v_add_f64 v[6:7], v[178:179], -v[194:195]
	v_add_f64 v[116:117], v[4:5], v[192:193]
	v_add_f64 v[4:5], v[174:175], v[192:193]
	v_fma_f64 v[4:5], v[4:5], -0.5, v[176:177]
	v_fma_f64 v[106:107], v[6:7], s[14:15], v[4:5]
	v_fma_f64 v[110:111], v[6:7], s[12:13], v[4:5]
	v_add_f64 v[4:5], v[172:173], v[178:179]
	v_add_f64 v[6:7], v[174:175], -v[192:193]
	v_add_f64 v[128:129], v[4:5], v[194:195]
	v_add_f64 v[4:5], v[178:179], v[194:195]
	v_fma_f64 v[4:5], v[4:5], -0.5, v[172:173]
	v_fma_f64 v[120:121], v[6:7], s[12:13], v[4:5]
	v_fma_f64 v[130:131], v[6:7], s[14:15], v[4:5]
	v_add_f64 v[4:5], v[112:113], v[116:117]
	v_mul_f64 v[6:7], v[120:121], s[14:15]
	v_fma_f64 v[132:133], v[106:107], 0.5, v[6:7]
	v_mul_f64 v[6:7], v[110:111], -0.5
	v_mul_f64 v[106:107], v[106:107], s[12:13]
	v_add_f64 v[104:105], v[114:115], v[132:133]
	v_fma_f64 v[134:135], v[130:131], s[14:15], v[6:7]
	v_fma_f64 v[136:137], v[120:121], 0.5, v[106:107]
	v_mul_f64 v[120:121], v[130:131], -0.5
	v_add_f64 v[6:7], v[122:123], v[128:129]
	v_add_f64 v[122:123], v[122:123], -v[128:129]
	v_add_f64 v[108:109], v[118:119], v[134:135]
	v_add_f64 v[106:107], v[124:125], v[136:137]
	v_fma_f64 v[130:131], v[110:111], s[12:13], v[120:121]
	v_add_f64 v[120:121], v[112:113], -v[116:117]
	v_add_f64 v[112:113], v[118:119], -v[134:135]
	v_add_f64 v[118:119], v[124:125], -v[136:137]
	v_add_f64 v[124:125], v[0:1], v[182:183]
	v_add_f64 v[116:117], v[114:115], -v[132:133]
	v_add_f64 v[110:111], v[126:127], v[130:131]
	v_add_f64 v[114:115], v[126:127], -v[130:131]
	v_add_f64 v[132:133], v[124:125], v[188:189]
	v_add_f64 v[124:125], v[182:183], v[188:189]
	v_fma_f64 v[0:1], v[124:125], -0.5, v[0:1]
	v_add_f64 v[124:125], v[186:187], -v[190:191]
	v_fma_f64 v[136:137], v[124:125], s[14:15], v[0:1]
	v_fma_f64 v[142:143], v[124:125], s[12:13], v[0:1]
	v_add_f64 v[0:1], v[2:3], v[186:187]
	v_add_f64 v[148:149], v[0:1], v[190:191]
	;; [unrolled: 1-line block ×3, first 2 shown]
	v_fma_f64 v[0:1], v[0:1], -0.5, v[2:3]
	v_add_f64 v[2:3], v[182:183], -v[188:189]
	v_fma_f64 v[138:139], v[2:3], s[12:13], v[0:1]
	v_fma_f64 v[134:135], v[2:3], s[14:15], v[0:1]
	v_add_f64 v[0:1], v[170:171], v[166:167]
	v_add_f64 v[2:3], v[168:169], -v[184:185]
	v_add_f64 v[140:141], v[0:1], v[180:181]
	v_add_f64 v[0:1], v[166:167], v[180:181]
	;; [unrolled: 1-line block ×3, first 2 shown]
	v_fma_f64 v[0:1], v[0:1], -0.5, v[170:171]
	v_add_f64 v[140:141], v[132:133], -v[140:141]
	v_fma_f64 v[126:127], v[2:3], s[14:15], v[0:1]
	v_fma_f64 v[144:145], v[2:3], s[12:13], v[0:1]
	v_add_f64 v[0:1], v[164:165], v[168:169]
	v_add_f64 v[2:3], v[166:167], -v[180:181]
	v_add_f64 v[150:151], v[0:1], v[184:185]
	v_add_f64 v[0:1], v[168:169], v[184:185]
	;; [unrolled: 1-line block ×3, first 2 shown]
	v_fma_f64 v[0:1], v[0:1], -0.5, v[164:165]
	v_mad_u64_u32 v[164:165], null, 0x50, v218, s[2:3]
	v_fma_f64 v[146:147], v[2:3], s[12:13], v[0:1]
	v_fma_f64 v[152:153], v[2:3], s[14:15], v[0:1]
	v_mul_f64 v[2:3], v[144:145], -0.5
	v_mul_f64 v[0:1], v[146:147], s[14:15]
	v_fma_f64 v[156:157], v[152:153], s[14:15], v[2:3]
	v_mul_f64 v[2:3], v[126:127], s[12:13]
	v_fma_f64 v[154:155], v[126:127], 0.5, v[0:1]
	v_mul_f64 v[126:127], v[152:153], -0.5
	v_add_f64 v[132:133], v[142:143], -v[156:157]
	v_fma_f64 v[146:147], v[146:147], 0.5, v[2:3]
	v_add_f64 v[124:125], v[142:143], v[156:157]
	v_add_f64 v[142:143], v[148:149], -v[150:151]
	v_add_f64 v[0:1], v[136:137], v[154:155]
	v_fma_f64 v[144:145], v[144:145], s[12:13], v[126:127]
	v_add_f64 v[136:137], v[136:137], -v[154:155]
	v_add_f64 v[2:3], v[138:139], v[146:147]
	v_add_f64 v[138:139], v[138:139], -v[146:147]
	v_add_f64 v[126:127], v[134:135], v[144:145]
	v_add_f64 v[134:135], v[134:135], -v[144:145]
	v_mov_b32_e32 v144, 60
	v_mul_u32_u24_sdwa v145, v206, v144 dst_sel:DWORD dst_unused:UNUSED_PAD src0_sel:WORD_0 src1_sel:DWORD
	v_add_lshl_u32 v145, v145, v207, 4
	ds_write_b128 v145, v[28:31]
	ds_write_b128 v145, v[24:27] offset:160
	ds_write_b128 v145, v[20:23] offset:320
	ds_write_b128 v145, v[40:43] offset:480
	ds_write_b128 v145, v[36:39] offset:640
	v_mul_u32_u24_sdwa v20, v208, v144 dst_sel:DWORD dst_unused:UNUSED_PAD src0_sel:WORD_0 src1_sel:DWORD
	buffer_store_dword v145, off, s[24:27], 0 offset:1152 ; 4-byte Folded Spill
	ds_write_b128 v145, v[32:35] offset:800
	v_add_lshl_u32 v20, v20, v209, 4
	ds_write_b128 v20, v[48:51]
	ds_write_b128 v20, v[44:47] offset:160
	ds_write_b128 v20, v[16:19] offset:320
	ds_write_b128 v20, v[60:63] offset:480
	ds_write_b128 v20, v[56:59] offset:640
	v_mul_u32_u24_sdwa v16, v210, v144 dst_sel:DWORD dst_unused:UNUSED_PAD src0_sel:WORD_0 src1_sel:DWORD
	buffer_store_dword v20, off, s[24:27], 0 offset:1148 ; 4-byte Folded Spill
	ds_write_b128 v20, v[52:55] offset:800
	;; [unrolled: 9-line block ×3, first 2 shown]
	v_add_lshl_u32 v12, v12, v213, 4
	ds_write_b128 v12, v[8:11]
	ds_write_b128 v12, v[84:87] offset:160
	ds_write_b128 v12, v[88:91] offset:320
	;; [unrolled: 1-line block ×4, first 2 shown]
	v_mad_u16 v8, v214, 60, v215
	buffer_store_dword v12, off, s[24:27], 0 offset:1140 ; 4-byte Folded Spill
	ds_write_b128 v12, v[92:95] offset:800
	v_lshlrev_b32_sdwa v8, v227, v8 dst_sel:DWORD dst_unused:UNUSED_PAD src0_sel:DWORD src1_sel:WORD_0
	ds_write_b128 v8, v[4:7]
	ds_write_b128 v8, v[104:107] offset:160
	ds_write_b128 v8, v[108:111] offset:320
	;; [unrolled: 1-line block ×4, first 2 shown]
	v_mad_u16 v4, v216, 60, v217
	buffer_store_dword v8, off, s[24:27], 0 offset:1136 ; 4-byte Folded Spill
	ds_write_b128 v8, v[112:115] offset:800
	v_lshlrev_b32_sdwa v4, v227, v4 dst_sel:DWORD dst_unused:UNUSED_PAD src0_sel:DWORD src1_sel:WORD_0
	ds_write_b128 v4, v[128:131]
	ds_write_b128 v4, v[0:3] offset:160
	ds_write_b128 v4, v[124:127] offset:320
	;; [unrolled: 1-line block ×4, first 2 shown]
	buffer_store_dword v4, off, s[24:27], 0 offset:1132 ; 4-byte Folded Spill
	ds_write_b128 v4, v[132:135] offset:800
	s_waitcnt lgkmcnt(0)
	s_waitcnt_vscnt null, 0x0
	s_barrier
	buffer_gl0_inv
	ds_read_b128 v[36:39], v238
	ds_read_b128 v[156:159], v238 offset:5760
	ds_read_b128 v[152:155], v238 offset:11520
	;; [unrolled: 1-line block ×35, first 2 shown]
	s_clause 0x3
	global_load_dwordx4 v[0:3], v[164:165], off offset:848
	global_load_dwordx4 v[4:7], v[164:165], off offset:832
	;; [unrolled: 1-line block ×4, first 2 shown]
	s_waitcnt vmcnt(0) lgkmcnt(34)
	v_mul_f64 v[160:161], v[158:159], v[14:15]
	v_fma_f64 v[208:209], v[156:157], v[12:13], -v[160:161]
	v_mul_f64 v[156:157], v[156:157], v[14:15]
	v_fma_f64 v[194:195], v[158:159], v[12:13], v[156:157]
	s_waitcnt lgkmcnt(33)
	v_mul_f64 v[156:157], v[154:155], v[10:11]
	v_fma_f64 v[214:215], v[152:153], v[8:9], -v[156:157]
	v_mul_f64 v[152:153], v[152:153], v[10:11]
	v_fma_f64 v[216:217], v[154:155], v[8:9], v[152:153]
	s_waitcnt lgkmcnt(32)
	;; [unrolled: 5-line block ×3, first 2 shown]
	v_mul_f64 v[148:149], v[18:19], v[2:3]
	v_fma_f64 v[218:219], v[16:17], v[0:1], -v[148:149]
	v_mul_f64 v[16:17], v[16:17], v[2:3]
	v_fma_f64 v[220:221], v[18:19], v[0:1], v[16:17]
	global_load_dwordx4 v[16:19], v[164:165], off offset:864
	s_waitcnt vmcnt(0) lgkmcnt(30)
	v_mul_f64 v[148:149], v[146:147], v[18:19]
	v_fma_f64 v[222:223], v[144:145], v[16:17], -v[148:149]
	v_mul_f64 v[144:145], v[144:145], v[18:19]
	v_fma_f64 v[224:225], v[146:147], v[16:17], v[144:145]
	s_waitcnt lgkmcnt(28)
	v_mul_f64 v[144:145], v[142:143], v[14:15]
	v_fma_f64 v[176:177], v[140:141], v[12:13], -v[144:145]
	v_mul_f64 v[140:141], v[140:141], v[14:15]
	v_fma_f64 v[166:167], v[142:143], v[12:13], v[140:141]
	s_waitcnt lgkmcnt(27)
	;; [unrolled: 5-line block ×5, first 2 shown]
	v_mul_f64 v[128:129], v[126:127], v[18:19]
	v_fma_f64 v[172:173], v[124:125], v[16:17], -v[128:129]
	v_mul_f64 v[124:125], v[124:125], v[18:19]
	v_fma_f64 v[174:175], v[126:127], v[16:17], v[124:125]
	v_mul_lo_u16 v124, 0x89, v205
	v_lshrrev_b16 v124, 13, v124
	v_mul_lo_u16 v124, v124, 60
	v_sub_nc_u16 v124, v204, v124
	v_and_b32_e32 v232, 0xff, v124
	v_mad_u64_u32 v[124:125], null, 0x50, v232, s[2:3]
	s_clause 0x3
	global_load_dwordx4 v[128:131], v[124:125], off offset:848
	global_load_dwordx4 v[132:135], v[124:125], off offset:832
	;; [unrolled: 1-line block ×4, first 2 shown]
	s_waitcnt vmcnt(0) lgkmcnt(22)
	v_mul_f64 v[126:127], v[122:123], v[142:143]
	v_fma_f64 v[188:189], v[120:121], v[140:141], -v[126:127]
	v_mul_f64 v[120:121], v[120:121], v[142:143]
	buffer_store_dword v140, off, s[24:27], 0 offset:1208 ; 4-byte Folded Spill
	buffer_store_dword v141, off, s[24:27], 0 offset:1212 ; 4-byte Folded Spill
	buffer_store_dword v142, off, s[24:27], 0 offset:1216 ; 4-byte Folded Spill
	buffer_store_dword v143, off, s[24:27], 0 offset:1220 ; 4-byte Folded Spill
	v_fma_f64 v[120:121], v[122:123], v[140:141], v[120:121]
	s_waitcnt lgkmcnt(21)
	v_mul_f64 v[122:123], v[118:119], v[138:139]
	v_fma_f64 v[202:203], v[116:117], v[136:137], -v[122:123]
	v_mul_f64 v[116:117], v[116:117], v[138:139]
	buffer_store_dword v136, off, s[24:27], 0 offset:1192 ; 4-byte Folded Spill
	buffer_store_dword v137, off, s[24:27], 0 offset:1196 ; 4-byte Folded Spill
	buffer_store_dword v138, off, s[24:27], 0 offset:1200 ; 4-byte Folded Spill
	buffer_store_dword v139, off, s[24:27], 0 offset:1204 ; 4-byte Folded Spill
	v_fma_f64 v[206:207], v[118:119], v[136:137], v[116:117]
	s_waitcnt lgkmcnt(20)
	;; [unrolled: 9-line block ×3, first 2 shown]
	v_mul_f64 v[112:113], v[110:111], v[130:131]
	v_fma_f64 v[210:211], v[108:109], v[128:129], -v[112:113]
	v_mul_f64 v[108:109], v[108:109], v[130:131]
	buffer_store_dword v128, off, s[24:27], 0 offset:1160 ; 4-byte Folded Spill
	buffer_store_dword v129, off, s[24:27], 0 offset:1164 ; 4-byte Folded Spill
	;; [unrolled: 1-line block ×4, first 2 shown]
	v_fma_f64 v[212:213], v[110:111], v[128:129], v[108:109]
	global_load_dwordx4 v[110:113], v[124:125], off offset:864
	s_waitcnt vmcnt(0) lgkmcnt(18)
	v_mul_f64 v[108:109], v[106:107], v[112:113]
	v_fma_f64 v[198:199], v[104:105], v[110:111], -v[108:109]
	v_mul_f64 v[104:105], v[104:105], v[112:113]
	buffer_store_dword v110, off, s[24:27], 0 offset:1224 ; 4-byte Folded Spill
	buffer_store_dword v111, off, s[24:27], 0 offset:1228 ; 4-byte Folded Spill
	;; [unrolled: 1-line block ×4, first 2 shown]
	v_fma_f64 v[204:205], v[106:107], v[110:111], v[104:105]
	v_mul_lo_u16 v104, 0x89, v231
	v_lshrrev_b16 v104, 13, v104
	v_mul_lo_u16 v104, v104, 60
	v_sub_nc_u16 v104, v228, v104
	v_and_b32_e32 v228, 0xff, v104
	v_mad_u64_u32 v[112:113], null, 0x50, v228, s[2:3]
	s_clause 0x3
	global_load_dwordx4 v[124:127], v[112:113], off offset:848
	global_load_dwordx4 v[128:131], v[112:113], off offset:832
	global_load_dwordx4 v[108:111], v[112:113], off offset:816
	global_load_dwordx4 v[114:117], v[112:113], off offset:800
	s_waitcnt vmcnt(0) lgkmcnt(16)
	v_mul_f64 v[104:105], v[102:103], v[116:117]
	v_fma_f64 v[106:107], v[100:101], v[114:115], -v[104:105]
	v_mul_f64 v[100:101], v[100:101], v[116:117]
	buffer_store_dword v114, off, s[24:27], 0 offset:1288 ; 4-byte Folded Spill
	buffer_store_dword v115, off, s[24:27], 0 offset:1292 ; 4-byte Folded Spill
	buffer_store_dword v116, off, s[24:27], 0 offset:1296 ; 4-byte Folded Spill
	buffer_store_dword v117, off, s[24:27], 0 offset:1300 ; 4-byte Folded Spill
	v_fma_f64 v[104:105], v[102:103], v[114:115], v[100:101]
	s_waitcnt lgkmcnt(15)
	v_mul_f64 v[100:101], v[98:99], v[110:111]
	v_fma_f64 v[116:117], v[96:97], v[108:109], -v[100:101]
	v_mul_f64 v[96:97], v[96:97], v[110:111]
	buffer_store_dword v108, off, s[24:27], 0 offset:1272 ; 4-byte Folded Spill
	buffer_store_dword v109, off, s[24:27], 0 offset:1276 ; 4-byte Folded Spill
	buffer_store_dword v110, off, s[24:27], 0 offset:1280 ; 4-byte Folded Spill
	buffer_store_dword v111, off, s[24:27], 0 offset:1284 ; 4-byte Folded Spill
	v_fma_f64 v[118:119], v[98:99], v[108:109], v[96:97]
	s_waitcnt lgkmcnt(14)
	;; [unrolled: 9-line block ×3, first 2 shown]
	v_mul_f64 v[92:93], v[90:91], v[126:127]
	v_fma_f64 v[122:123], v[88:89], v[124:125], -v[92:93]
	v_mul_f64 v[88:89], v[88:89], v[126:127]
	buffer_store_dword v124, off, s[24:27], 0 offset:1240 ; 4-byte Folded Spill
	buffer_store_dword v125, off, s[24:27], 0 offset:1244 ; 4-byte Folded Spill
	;; [unrolled: 1-line block ×4, first 2 shown]
	v_fma_f64 v[186:187], v[90:91], v[124:125], v[88:89]
	global_load_dwordx4 v[90:93], v[112:113], off offset:864
	s_waitcnt vmcnt(0) lgkmcnt(12)
	v_mul_f64 v[88:89], v[86:87], v[92:93]
	v_fma_f64 v[112:113], v[84:85], v[90:91], -v[88:89]
	v_mul_f64 v[84:85], v[84:85], v[92:93]
	buffer_store_dword v90, off, s[24:27], 0 offset:1304 ; 4-byte Folded Spill
	buffer_store_dword v91, off, s[24:27], 0 offset:1308 ; 4-byte Folded Spill
	;; [unrolled: 1-line block ×4, first 2 shown]
	v_mov_b32_e32 v88, 0x8889
	v_fma_f64 v[114:115], v[86:87], v[90:91], v[84:85]
	v_mul_u32_u24_sdwa v84, v230, v88 dst_sel:DWORD dst_unused:UNUSED_PAD src0_sel:WORD_0 src1_sel:DWORD
	v_lshrrev_b32_e32 v84, 21, v84
	v_mul_lo_u16 v84, v84, 60
	v_sub_nc_u16 v230, v230, v84
	v_mul_lo_u16 v84, 0x50, v230
	v_and_b32_e32 v84, 0xffff, v84
	v_add_co_u32 v84, s0, s2, v84
	v_add_co_ci_u32_e64 v85, null, s3, 0, s0
	s_clause 0x3
	global_load_dwordx4 v[89:92], v[84:85], off offset:848
	global_load_dwordx4 v[93:96], v[84:85], off offset:832
	;; [unrolled: 1-line block ×4, first 2 shown]
	s_waitcnt vmcnt(0) lgkmcnt(10)
	v_mul_f64 v[86:87], v[82:83], v[126:127]
	v_fma_f64 v[130:131], v[80:81], v[124:125], -v[86:87]
	v_mul_f64 v[80:81], v[80:81], v[126:127]
	buffer_store_dword v124, off, s[24:27], 0 offset:1368 ; 4-byte Folded Spill
	buffer_store_dword v125, off, s[24:27], 0 offset:1372 ; 4-byte Folded Spill
	buffer_store_dword v126, off, s[24:27], 0 offset:1376 ; 4-byte Folded Spill
	buffer_store_dword v127, off, s[24:27], 0 offset:1380 ; 4-byte Folded Spill
	v_fma_f64 v[124:125], v[82:83], v[124:125], v[80:81]
	s_waitcnt lgkmcnt(9)
	v_mul_f64 v[80:81], v[78:79], v[99:100]
	v_fma_f64 v[134:135], v[76:77], v[97:98], -v[80:81]
	v_mul_f64 v[76:77], v[76:77], v[99:100]
	buffer_store_dword v97, off, s[24:27], 0 offset:1352 ; 4-byte Folded Spill
	buffer_store_dword v98, off, s[24:27], 0 offset:1356 ; 4-byte Folded Spill
	buffer_store_dword v99, off, s[24:27], 0 offset:1360 ; 4-byte Folded Spill
	buffer_store_dword v100, off, s[24:27], 0 offset:1364 ; 4-byte Folded Spill
	v_fma_f64 v[138:139], v[78:79], v[97:98], v[76:77]
	s_waitcnt lgkmcnt(8)
	;; [unrolled: 9-line block ×3, first 2 shown]
	v_mul_f64 v[72:73], v[70:71], v[91:92]
	v_fma_f64 v[140:141], v[68:69], v[89:90], -v[72:73]
	v_mul_f64 v[68:69], v[68:69], v[91:92]
	buffer_store_dword v89, off, s[24:27], 0 offset:1320 ; 4-byte Folded Spill
	buffer_store_dword v90, off, s[24:27], 0 offset:1324 ; 4-byte Folded Spill
	buffer_store_dword v91, off, s[24:27], 0 offset:1328 ; 4-byte Folded Spill
	buffer_store_dword v92, off, s[24:27], 0 offset:1332 ; 4-byte Folded Spill
	v_fma_f64 v[142:143], v[70:71], v[89:90], v[68:69]
	global_load_dwordx4 v[70:73], v[84:85], off offset:864
	s_waitcnt vmcnt(0) lgkmcnt(6)
	v_mul_f64 v[68:69], v[66:67], v[72:73]
	v_fma_f64 v[132:133], v[64:65], v[70:71], -v[68:69]
	v_mul_f64 v[64:65], v[64:65], v[72:73]
	buffer_store_dword v70, off, s[24:27], 0 offset:1384 ; 4-byte Folded Spill
	buffer_store_dword v71, off, s[24:27], 0 offset:1388 ; 4-byte Folded Spill
	;; [unrolled: 1-line block ×4, first 2 shown]
	v_fma_f64 v[136:137], v[66:67], v[70:71], v[64:65]
	v_mul_u32_u24_sdwa v64, v229, v88 dst_sel:DWORD dst_unused:UNUSED_PAD src0_sel:WORD_0 src1_sel:DWORD
	v_lshrrev_b32_e32 v64, 21, v64
	v_mul_lo_u16 v64, v64, 60
	v_sub_nc_u16 v229, v229, v64
	v_mul_lo_u16 v64, 0x50, v229
	v_and_b32_e32 v64, 0xffff, v64
	v_add_co_u32 v64, s0, s2, v64
	v_add_co_ci_u32_e64 v65, null, s3, 0, s0
	s_clause 0x3
	global_load_dwordx4 v[68:71], v[64:65], off offset:848
	global_load_dwordx4 v[72:75], v[64:65], off offset:832
	;; [unrolled: 1-line block ×4, first 2 shown]
	s_waitcnt vmcnt(0) lgkmcnt(4)
	v_mul_f64 v[66:67], v[58:59], v[82:83]
	v_fma_f64 v[150:151], v[56:57], v[80:81], -v[66:67]
	v_mul_f64 v[56:57], v[56:57], v[82:83]
	buffer_store_dword v80, off, s[24:27], 0 offset:1452 ; 4-byte Folded Spill
	buffer_store_dword v81, off, s[24:27], 0 offset:1456 ; 4-byte Folded Spill
	buffer_store_dword v82, off, s[24:27], 0 offset:1460 ; 4-byte Folded Spill
	buffer_store_dword v83, off, s[24:27], 0 offset:1464 ; 4-byte Folded Spill
	v_fma_f64 v[144:145], v[58:59], v[80:81], v[56:57]
	s_waitcnt lgkmcnt(3)
	v_mul_f64 v[56:57], v[54:55], v[78:79]
	v_fma_f64 v[156:157], v[52:53], v[76:77], -v[56:57]
	v_mul_f64 v[52:53], v[52:53], v[78:79]
	buffer_store_dword v76, off, s[24:27], 0 offset:1432 ; 4-byte Folded Spill
	buffer_store_dword v77, off, s[24:27], 0 offset:1436 ; 4-byte Folded Spill
	buffer_store_dword v78, off, s[24:27], 0 offset:1440 ; 4-byte Folded Spill
	buffer_store_dword v79, off, s[24:27], 0 offset:1444 ; 4-byte Folded Spill
	v_fma_f64 v[158:159], v[54:55], v[76:77], v[52:53]
	s_waitcnt lgkmcnt(2)
	;; [unrolled: 9-line block ×3, first 2 shown]
	v_mul_f64 v[48:49], v[46:47], v[70:71]
	v_fma_f64 v[160:161], v[44:45], v[68:69], -v[48:49]
	v_mul_f64 v[44:45], v[44:45], v[70:71]
	buffer_store_dword v68, off, s[24:27], 0 offset:1400 ; 4-byte Folded Spill
	buffer_store_dword v69, off, s[24:27], 0 offset:1404 ; 4-byte Folded Spill
	;; [unrolled: 1-line block ×4, first 2 shown]
	v_fma_f64 v[162:163], v[46:47], v[68:69], v[44:45]
	global_load_dwordx4 v[46:49], v[64:65], off offset:864
	s_waitcnt vmcnt(0) lgkmcnt(0)
	v_mul_f64 v[44:45], v[42:43], v[48:49]
	v_fma_f64 v[152:153], v[40:41], v[46:47], -v[44:45]
	v_mul_f64 v[40:41], v[40:41], v[48:49]
	buffer_store_dword v46, off, s[24:27], 0 offset:1468 ; 4-byte Folded Spill
	buffer_store_dword v47, off, s[24:27], 0 offset:1472 ; 4-byte Folded Spill
	;; [unrolled: 1-line block ×4, first 2 shown]
	s_waitcnt_vscnt null, 0x0
	s_barrier
	buffer_gl0_inv
	v_fma_f64 v[154:155], v[42:43], v[46:47], v[40:41]
	v_add_f64 v[40:41], v[36:37], v[214:215]
	v_add_f64 v[48:49], v[40:41], v[218:219]
	;; [unrolled: 1-line block ×3, first 2 shown]
	v_fma_f64 v[36:37], v[40:41], -0.5, v[36:37]
	v_add_f64 v[40:41], v[216:217], -v[220:221]
	v_fma_f64 v[50:51], v[40:41], s[14:15], v[36:37]
	v_fma_f64 v[54:55], v[40:41], s[12:13], v[36:37]
	v_add_f64 v[36:37], v[38:39], v[216:217]
	v_add_f64 v[40:41], v[196:197], -v[222:223]
	v_add_f64 v[58:59], v[36:37], v[220:221]
	v_add_f64 v[36:37], v[216:217], v[220:221]
	v_fma_f64 v[36:37], v[36:37], -0.5, v[38:39]
	v_add_f64 v[38:39], v[214:215], -v[218:219]
	v_fma_f64 v[64:65], v[38:39], s[12:13], v[36:37]
	v_fma_f64 v[66:67], v[38:39], s[14:15], v[36:37]
	v_add_f64 v[36:37], v[208:209], v[196:197]
	v_add_f64 v[38:39], v[200:201], -v[224:225]
	v_add_f64 v[52:53], v[36:37], v[222:223]
	v_add_f64 v[36:37], v[196:197], v[222:223]
	v_mad_u64_u32 v[196:197], null, 0x50, v226, s[2:3]
	v_add_f64 v[44:45], v[48:49], v[52:53]
	v_fma_f64 v[36:37], v[36:37], -0.5, v[208:209]
	v_fma_f64 v[42:43], v[38:39], s[14:15], v[36:37]
	v_fma_f64 v[38:39], v[38:39], s[12:13], v[36:37]
	v_add_f64 v[36:37], v[194:195], v[200:201]
	v_add_f64 v[68:69], v[36:37], v[224:225]
	;; [unrolled: 1-line block ×4, first 2 shown]
	v_fma_f64 v[36:37], v[36:37], -0.5, v[194:195]
	v_add_f64 v[58:59], v[58:59], -v[68:69]
	v_fma_f64 v[56:57], v[40:41], s[12:13], v[36:37]
	v_fma_f64 v[70:71], v[40:41], s[14:15], v[36:37]
	v_mul_f64 v[36:37], v[56:57], s[14:15]
	v_fma_f64 v[72:73], v[42:43], 0.5, v[36:37]
	v_mul_f64 v[36:37], v[38:39], -0.5
	v_mul_f64 v[42:43], v[42:43], s[12:13]
	v_add_f64 v[40:41], v[50:51], v[72:73]
	v_fma_f64 v[74:75], v[70:71], s[14:15], v[36:37]
	v_fma_f64 v[76:77], v[56:57], 0.5, v[42:43]
	v_mul_f64 v[56:57], v[70:71], -0.5
	v_add_f64 v[36:37], v[54:55], v[74:75]
	v_add_f64 v[42:43], v[64:65], v[76:77]
	v_fma_f64 v[70:71], v[38:39], s[12:13], v[56:57]
	v_add_f64 v[56:57], v[48:49], -v[52:53]
	v_add_f64 v[48:49], v[54:55], -v[74:75]
	;; [unrolled: 1-line block ×3, first 2 shown]
	v_add_f64 v[64:65], v[60:61], v[178:179]
	v_add_f64 v[52:53], v[50:51], -v[72:73]
	v_add_f64 v[38:39], v[66:67], v[70:71]
	v_add_f64 v[50:51], v[66:67], -v[70:71]
	v_add_f64 v[72:73], v[64:65], v[182:183]
	v_add_f64 v[64:65], v[178:179], v[182:183]
	v_fma_f64 v[60:61], v[64:65], -0.5, v[60:61]
	v_add_f64 v[64:65], v[180:181], -v[184:185]
	v_fma_f64 v[74:75], v[64:65], s[14:15], v[60:61]
	v_fma_f64 v[78:79], v[64:65], s[12:13], v[60:61]
	v_add_f64 v[60:61], v[62:63], v[180:181]
	v_add_f64 v[64:65], v[168:169], -v[172:173]
	v_add_f64 v[82:83], v[60:61], v[184:185]
	v_add_f64 v[60:61], v[180:181], v[184:185]
	v_fma_f64 v[60:61], v[60:61], -0.5, v[62:63]
	v_add_f64 v[62:63], v[178:179], -v[182:183]
	v_fma_f64 v[84:85], v[62:63], s[12:13], v[60:61]
	v_fma_f64 v[86:87], v[62:63], s[14:15], v[60:61]
	v_add_f64 v[60:61], v[176:177], v[168:169]
	v_add_f64 v[62:63], v[170:171], -v[174:175]
	v_add_f64 v[76:77], v[60:61], v[172:173]
	v_add_f64 v[60:61], v[168:169], v[172:173]
	;; [unrolled: 1-line block ×3, first 2 shown]
	v_fma_f64 v[60:61], v[60:61], -0.5, v[176:177]
	v_fma_f64 v[66:67], v[62:63], s[14:15], v[60:61]
	v_fma_f64 v[62:63], v[62:63], s[12:13], v[60:61]
	v_add_f64 v[60:61], v[166:167], v[170:171]
	v_add_f64 v[88:89], v[60:61], v[174:175]
	;; [unrolled: 1-line block ×4, first 2 shown]
	v_fma_f64 v[60:61], v[60:61], -0.5, v[166:167]
	v_add_f64 v[82:83], v[82:83], -v[88:89]
	v_fma_f64 v[80:81], v[64:65], s[12:13], v[60:61]
	v_fma_f64 v[90:91], v[64:65], s[14:15], v[60:61]
	v_mul_f64 v[60:61], v[80:81], s[14:15]
	v_fma_f64 v[92:93], v[66:67], 0.5, v[60:61]
	v_mul_f64 v[60:61], v[62:63], -0.5
	v_mul_f64 v[66:67], v[66:67], s[12:13]
	v_add_f64 v[64:65], v[74:75], v[92:93]
	v_fma_f64 v[94:95], v[90:91], s[14:15], v[60:61]
	v_fma_f64 v[96:97], v[80:81], 0.5, v[66:67]
	v_mul_f64 v[80:81], v[90:91], -0.5
	v_add_f64 v[60:61], v[78:79], v[94:95]
	v_add_f64 v[66:67], v[84:85], v[96:97]
	v_fma_f64 v[90:91], v[62:63], s[12:13], v[80:81]
	v_add_f64 v[80:81], v[72:73], -v[76:77]
	v_add_f64 v[72:73], v[78:79], -v[94:95]
	;; [unrolled: 1-line block ×3, first 2 shown]
	v_add_f64 v[84:85], v[32:33], v[202:203]
	v_add_f64 v[76:77], v[74:75], -v[92:93]
	v_add_f64 v[62:63], v[86:87], v[90:91]
	v_add_f64 v[74:75], v[86:87], -v[90:91]
	ds_write_b128 v238, v[44:47]
	ds_write_b128 v238, v[40:43] offset:960
	ds_write_b128 v238, v[36:39] offset:1920
	;; [unrolled: 1-line block ×11, first 2 shown]
	v_add_f64 v[92:93], v[84:85], v[210:211]
	v_add_f64 v[84:85], v[202:203], v[210:211]
	v_fma_f64 v[32:33], v[84:85], -0.5, v[32:33]
	v_add_f64 v[84:85], v[206:207], -v[212:213]
	v_fma_f64 v[94:95], v[84:85], s[14:15], v[32:33]
	v_fma_f64 v[98:99], v[84:85], s[12:13], v[32:33]
	v_add_f64 v[32:33], v[34:35], v[206:207]
	v_add_f64 v[84:85], v[190:191], -v[198:199]
	v_add_f64 v[102:103], v[32:33], v[212:213]
	v_add_f64 v[32:33], v[206:207], v[212:213]
	v_fma_f64 v[32:33], v[32:33], -0.5, v[34:35]
	v_add_f64 v[34:35], v[202:203], -v[210:211]
	v_fma_f64 v[166:167], v[34:35], s[12:13], v[32:33]
	v_fma_f64 v[168:169], v[34:35], s[14:15], v[32:33]
	v_add_f64 v[32:33], v[188:189], v[190:191]
	v_add_f64 v[34:35], v[192:193], -v[204:205]
	v_add_f64 v[96:97], v[32:33], v[198:199]
	v_add_f64 v[32:33], v[190:191], v[198:199]
	v_lshlrev_b32_e32 v191, 4, v232
	v_lshlrev_b32_e32 v190, 4, v228
	v_add_f64 v[88:89], v[92:93], v[96:97]
	v_fma_f64 v[32:33], v[32:33], -0.5, v[188:189]
	v_fma_f64 v[86:87], v[34:35], s[14:15], v[32:33]
	v_fma_f64 v[34:35], v[34:35], s[12:13], v[32:33]
	v_add_f64 v[32:33], v[120:121], v[192:193]
	v_add_f64 v[170:171], v[32:33], v[204:205]
	;; [unrolled: 1-line block ×4, first 2 shown]
	v_fma_f64 v[32:33], v[32:33], -0.5, v[120:121]
	v_add_f64 v[102:103], v[102:103], -v[170:171]
	v_fma_f64 v[100:101], v[84:85], s[12:13], v[32:33]
	v_fma_f64 v[120:121], v[84:85], s[14:15], v[32:33]
	v_mul_f64 v[32:33], v[100:101], s[14:15]
	v_fma_f64 v[172:173], v[86:87], 0.5, v[32:33]
	v_mul_f64 v[32:33], v[34:35], -0.5
	v_mul_f64 v[86:87], v[86:87], s[12:13]
	v_add_f64 v[84:85], v[94:95], v[172:173]
	v_fma_f64 v[174:175], v[120:121], s[14:15], v[32:33]
	v_fma_f64 v[176:177], v[100:101], 0.5, v[86:87]
	v_mul_f64 v[100:101], v[120:121], -0.5
	v_add_f64 v[32:33], v[98:99], v[174:175]
	v_add_f64 v[86:87], v[166:167], v[176:177]
	v_fma_f64 v[120:121], v[34:35], s[12:13], v[100:101]
	v_add_f64 v[100:101], v[92:93], -v[96:97]
	v_add_f64 v[92:93], v[98:99], -v[174:175]
	;; [unrolled: 1-line block ×3, first 2 shown]
	v_add_f64 v[166:167], v[116:117], v[122:123]
	v_add_f64 v[96:97], v[94:95], -v[172:173]
	v_add_f64 v[34:35], v[168:169], v[120:121]
	v_add_f64 v[94:95], v[168:169], -v[120:121]
	v_add_f64 v[120:121], v[28:29], v[116:117]
	ds_write_b128 v191, v[88:91] offset:11520
	ds_write_b128 v191, v[84:87] offset:12480
	;; [unrolled: 1-line block ×6, first 2 shown]
	v_fma_f64 v[28:29], v[166:167], -0.5, v[28:29]
	v_add_f64 v[166:167], v[118:119], -v[186:187]
	v_add_f64 v[120:121], v[120:121], v[122:123]
	v_fma_f64 v[168:169], v[166:167], s[14:15], v[28:29]
	v_fma_f64 v[170:171], v[166:167], s[12:13], v[28:29]
	v_add_f64 v[28:29], v[30:31], v[118:119]
	v_add_f64 v[172:173], v[28:29], v[186:187]
	;; [unrolled: 1-line block ×3, first 2 shown]
	v_fma_f64 v[28:29], v[28:29], -0.5, v[30:31]
	v_add_f64 v[30:31], v[116:117], -v[122:123]
	v_fma_f64 v[118:119], v[30:31], s[12:13], v[28:29]
	v_fma_f64 v[166:167], v[30:31], s[14:15], v[28:29]
	v_add_f64 v[28:29], v[106:107], v[108:109]
	v_add_f64 v[30:31], v[110:111], -v[114:115]
	v_add_f64 v[116:117], v[28:29], v[112:113]
	v_add_f64 v[28:29], v[108:109], v[112:113]
	v_fma_f64 v[28:29], v[28:29], -0.5, v[106:107]
	v_fma_f64 v[106:107], v[30:31], s[14:15], v[28:29]
	v_fma_f64 v[30:31], v[30:31], s[12:13], v[28:29]
	v_add_f64 v[28:29], v[104:105], v[110:111]
	v_add_f64 v[122:123], v[28:29], v[114:115]
	;; [unrolled: 1-line block ×4, first 2 shown]
	v_fma_f64 v[28:29], v[28:29], -0.5, v[104:105]
	v_add_f64 v[104:105], v[108:109], -v[112:113]
	v_add_f64 v[108:109], v[120:121], v[116:117]
	v_add_f64 v[120:121], v[120:121], -v[116:117]
	v_add_f64 v[122:123], v[172:173], -v[122:123]
	v_fma_f64 v[112:113], v[104:105], s[12:13], v[28:29]
	v_fma_f64 v[114:115], v[104:105], s[14:15], v[28:29]
	v_mul_f64 v[28:29], v[112:113], s[14:15]
	v_fma_f64 v[174:175], v[106:107], 0.5, v[28:29]
	v_mul_f64 v[106:107], v[106:107], s[12:13]
	v_mul_f64 v[28:29], v[30:31], -0.5
	v_add_f64 v[104:105], v[168:169], v[174:175]
	v_fma_f64 v[178:179], v[112:113], 0.5, v[106:107]
	v_mul_f64 v[112:113], v[114:115], -0.5
	v_fma_f64 v[176:177], v[114:115], s[14:15], v[28:29]
	v_add_f64 v[116:117], v[168:169], -v[174:175]
	v_add_f64 v[168:169], v[134:135], v[140:141]
	v_add_f64 v[106:107], v[118:119], v[178:179]
	v_fma_f64 v[114:115], v[30:31], s[12:13], v[112:113]
	v_add_f64 v[28:29], v[170:171], v[176:177]
	v_add_f64 v[112:113], v[170:171], -v[176:177]
	v_add_f64 v[118:119], v[118:119], -v[178:179]
	v_add_f64 v[30:31], v[166:167], v[114:115]
	v_add_f64 v[114:115], v[166:167], -v[114:115]
	v_add_f64 v[166:167], v[24:25], v[134:135]
	v_fma_f64 v[24:25], v[168:169], -0.5, v[24:25]
	v_add_f64 v[168:169], v[138:139], -v[142:143]
	ds_write_b128 v190, v[108:111] offset:17280
	ds_write_b128 v190, v[104:107] offset:18240
	;; [unrolled: 1-line block ×6, first 2 shown]
	v_lshlrev_b32_sdwa v28, v227, v230 dst_sel:DWORD dst_unused:UNUSED_PAD src0_sel:DWORD src1_sel:WORD_0
	v_add_f64 v[166:167], v[166:167], v[140:141]
	v_fma_f64 v[170:171], v[168:169], s[14:15], v[24:25]
	v_fma_f64 v[168:169], v[168:169], s[12:13], v[24:25]
	v_add_f64 v[24:25], v[26:27], v[138:139]
	v_add_f64 v[172:173], v[24:25], v[142:143]
	;; [unrolled: 1-line block ×3, first 2 shown]
	v_fma_f64 v[24:25], v[24:25], -0.5, v[26:27]
	v_add_f64 v[26:27], v[134:135], -v[140:141]
	v_fma_f64 v[134:135], v[26:27], s[12:13], v[24:25]
	v_fma_f64 v[174:175], v[26:27], s[14:15], v[24:25]
	v_add_f64 v[24:25], v[130:131], v[126:127]
	v_add_f64 v[26:27], v[128:129], -v[136:137]
	v_add_f64 v[138:139], v[24:25], v[132:133]
	v_add_f64 v[24:25], v[126:127], v[132:133]
	v_fma_f64 v[24:25], v[24:25], -0.5, v[130:131]
	v_fma_f64 v[140:141], v[26:27], s[14:15], v[24:25]
	v_fma_f64 v[26:27], v[26:27], s[12:13], v[24:25]
	v_add_f64 v[24:25], v[124:125], v[128:129]
	v_add_f64 v[142:143], v[24:25], v[136:137]
	;; [unrolled: 1-line block ×5, first 2 shown]
	v_fma_f64 v[24:25], v[24:25], -0.5, v[124:125]
	v_add_f64 v[124:125], v[126:127], -v[132:133]
	v_add_f64 v[142:143], v[172:173], -v[142:143]
	v_fma_f64 v[126:127], v[124:125], s[12:13], v[24:25]
	v_fma_f64 v[132:133], v[124:125], s[14:15], v[24:25]
	v_mul_f64 v[24:25], v[126:127], s[14:15]
	v_fma_f64 v[136:137], v[140:141], 0.5, v[24:25]
	v_mul_f64 v[24:25], v[26:27], -0.5
	v_mul_f64 v[140:141], v[140:141], s[12:13]
	v_add_f64 v[124:125], v[170:171], v[136:137]
	v_fma_f64 v[176:177], v[132:133], s[14:15], v[24:25]
	v_mul_f64 v[132:133], v[132:133], -0.5
	v_fma_f64 v[178:179], v[126:127], 0.5, v[140:141]
	v_add_f64 v[140:141], v[166:167], -v[138:139]
	v_add_f64 v[166:167], v[20:21], v[156:157]
	v_add_f64 v[136:137], v[170:171], -v[136:137]
	v_add_f64 v[24:25], v[168:169], v[176:177]
	v_fma_f64 v[180:181], v[26:27], s[12:13], v[132:133]
	v_add_f64 v[132:133], v[168:169], -v[176:177]
	v_add_f64 v[168:169], v[156:157], v[160:161]
	v_add_f64 v[166:167], v[166:167], v[160:161]
	;; [unrolled: 1-line block ×3, first 2 shown]
	v_add_f64 v[138:139], v[134:135], -v[178:179]
	v_add_f64 v[26:27], v[174:175], v[180:181]
	v_add_f64 v[134:135], v[174:175], -v[180:181]
	v_fma_f64 v[20:21], v[168:169], -0.5, v[20:21]
	v_add_f64 v[168:169], v[158:159], -v[162:163]
	ds_write_b128 v28, v[128:131] offset:23040
	ds_write_b128 v28, v[124:127] offset:24000
	;; [unrolled: 1-line block ×5, first 2 shown]
	v_lshlrev_b32_sdwa v24, v227, v229 dst_sel:DWORD dst_unused:UNUSED_PAD src0_sel:DWORD src1_sel:WORD_0
	buffer_store_dword v28, off, s[24:27], 0 offset:1488 ; 4-byte Folded Spill
	ds_write_b128 v28, v[132:135] offset:27840
	v_fma_f64 v[170:171], v[168:169], s[14:15], v[20:21]
	v_fma_f64 v[168:169], v[168:169], s[12:13], v[20:21]
	v_add_f64 v[20:21], v[22:23], v[158:159]
	v_add_f64 v[172:173], v[20:21], v[162:163]
	;; [unrolled: 1-line block ×3, first 2 shown]
	v_fma_f64 v[20:21], v[20:21], -0.5, v[22:23]
	v_add_f64 v[22:23], v[156:157], -v[160:161]
	v_fma_f64 v[158:159], v[22:23], s[12:13], v[20:21]
	v_fma_f64 v[162:163], v[22:23], s[14:15], v[20:21]
	v_add_f64 v[20:21], v[150:151], v[146:147]
	v_add_f64 v[22:23], v[148:149], -v[154:155]
	v_add_f64 v[156:157], v[20:21], v[152:153]
	v_add_f64 v[20:21], v[146:147], v[152:153]
	v_fma_f64 v[20:21], v[20:21], -0.5, v[150:151]
	v_fma_f64 v[150:151], v[22:23], s[14:15], v[20:21]
	v_fma_f64 v[160:161], v[22:23], s[12:13], v[20:21]
	v_add_f64 v[20:21], v[144:145], v[148:149]
	v_add_f64 v[22:23], v[146:147], -v[152:153]
	v_add_f64 v[174:175], v[20:21], v[154:155]
	v_add_f64 v[20:21], v[148:149], v[154:155]
	v_fma_f64 v[20:21], v[20:21], -0.5, v[144:145]
	v_fma_f64 v[146:147], v[22:23], s[12:13], v[20:21]
	v_fma_f64 v[152:153], v[22:23], s[14:15], v[20:21]
	v_add_f64 v[20:21], v[166:167], v[156:157]
	v_mul_f64 v[22:23], v[146:147], s[14:15]
	v_fma_f64 v[154:155], v[150:151], 0.5, v[22:23]
	v_mul_f64 v[150:151], v[150:151], s[12:13]
	v_mul_f64 v[22:23], v[160:161], -0.5
	v_add_f64 v[144:145], v[170:171], v[154:155]
	v_fma_f64 v[178:179], v[146:147], 0.5, v[150:151]
	v_mul_f64 v[150:151], v[152:153], -0.5
	v_fma_f64 v[176:177], v[152:153], s[14:15], v[22:23]
	v_add_f64 v[22:23], v[172:173], v[174:175]
	v_add_f64 v[152:153], v[166:167], -v[156:157]
	v_add_f64 v[156:157], v[170:171], -v[154:155]
	;; [unrolled: 1-line block ×3, first 2 shown]
	v_add_co_u32 v166, s0, 0x15e0, v164
	v_add_co_ci_u32_e64 v167, s0, 0, v165, s0
	v_add_co_u32 v164, s0, 0x1000, v164
	v_add_co_ci_u32_e64 v165, s0, 0, v165, s0
	v_add_f64 v[146:147], v[158:159], v[178:179]
	v_fma_f64 v[180:181], v[160:161], s[12:13], v[150:151]
	v_add_f64 v[160:161], v[168:169], -v[176:177]
	v_add_f64 v[148:149], v[168:169], v[176:177]
	v_add_f64 v[158:159], v[158:159], -v[178:179]
	v_add_f64 v[150:151], v[162:163], v[180:181]
	v_add_f64 v[162:163], v[162:163], -v[180:181]
	ds_write_b128 v24, v[20:23] offset:28800
	ds_write_b128 v24, v[144:147] offset:29760
	;; [unrolled: 1-line block ×5, first 2 shown]
	buffer_store_dword v24, off, s[24:27], 0 offset:1484 ; 4-byte Folded Spill
	ds_write_b128 v24, v[160:163] offset:33600
	s_waitcnt lgkmcnt(0)
	s_waitcnt_vscnt null, 0x0
	s_barrier
	buffer_gl0_inv
	ds_read_b128 v[40:43], v238
	ds_read_b128 v[160:163], v238 offset:5760
	ds_read_b128 v[156:159], v238 offset:11520
	ds_read_b128 v[152:155], v238 offset:17280
	ds_read_b128 v[132:135], v238 offset:23040
	ds_read_b128 v[128:131], v238 offset:28800
	ds_read_b128 v[36:39], v238 offset:960
	ds_read_b128 v[148:151], v238 offset:6720
	ds_read_b128 v[144:147], v238 offset:12480
	ds_read_b128 v[140:143], v238 offset:18240
	ds_read_b128 v[136:139], v238 offset:24000
	ds_read_b128 v[124:127], v238 offset:29760
	ds_read_b128 v[32:35], v238 offset:1920
	ds_read_b128 v[120:123], v238 offset:7680
	ds_read_b128 v[116:119], v238 offset:13440
	ds_read_b128 v[112:115], v238 offset:19200
	ds_read_b128 v[108:111], v238 offset:24960
	ds_read_b128 v[104:107], v238 offset:30720
	ds_read_b128 v[28:31], v238 offset:2880
	ds_read_b128 v[100:103], v238 offset:8640
	ds_read_b128 v[96:99], v238 offset:14400
	ds_read_b128 v[92:95], v238 offset:20160
	ds_read_b128 v[88:91], v238 offset:25920
	ds_read_b128 v[84:87], v238 offset:31680
	ds_read_b128 v[24:27], v238 offset:3840
	ds_read_b128 v[80:83], v238 offset:9600
	ds_read_b128 v[76:79], v238 offset:15360
	ds_read_b128 v[72:75], v238 offset:21120
	ds_read_b128 v[68:71], v238 offset:26880
	ds_read_b128 v[64:67], v238 offset:32640
	ds_read_b128 v[20:23], v238 offset:4800
	ds_read_b128 v[60:63], v238 offset:10560
	ds_read_b128 v[56:59], v238 offset:16320
	ds_read_b128 v[52:55], v238 offset:22080
	ds_read_b128 v[48:51], v238 offset:27840
	ds_read_b128 v[44:47], v238 offset:33600
	s_clause 0x3
	global_load_dwordx4 v[168:171], v[164:165], off offset:1504
	global_load_dwordx4 v[172:175], v[166:167], off offset:48
	;; [unrolled: 1-line block ×4, first 2 shown]
	s_waitcnt vmcnt(3) lgkmcnt(34)
	v_mul_f64 v[166:167], v[162:163], v[170:171]
	v_fma_f64 v[166:167], v[160:161], v[168:169], -v[166:167]
	v_mul_f64 v[160:161], v[160:161], v[170:171]
	buffer_store_dword v168, off, s[24:27], 0 offset:1524 ; 4-byte Folded Spill
	buffer_store_dword v169, off, s[24:27], 0 offset:1528 ; 4-byte Folded Spill
	;; [unrolled: 1-line block ×4, first 2 shown]
	v_fma_f64 v[160:161], v[162:163], v[168:169], v[160:161]
	s_waitcnt vmcnt(0) lgkmcnt(33)
	v_mul_f64 v[162:163], v[158:159], v[186:187]
	v_fma_f64 v[176:177], v[156:157], v[184:185], -v[162:163]
	v_mul_f64 v[156:157], v[156:157], v[186:187]
	buffer_store_dword v184, off, s[24:27], 0 offset:1540 ; 4-byte Folded Spill
	buffer_store_dword v185, off, s[24:27], 0 offset:1544 ; 4-byte Folded Spill
	buffer_store_dword v186, off, s[24:27], 0 offset:1548 ; 4-byte Folded Spill
	buffer_store_dword v187, off, s[24:27], 0 offset:1552 ; 4-byte Folded Spill
	v_fma_f64 v[178:179], v[158:159], v[184:185], v[156:157]
	s_waitcnt lgkmcnt(32)
	v_mul_f64 v[156:157], v[154:155], v[182:183]
	v_fma_f64 v[168:169], v[152:153], v[180:181], -v[156:157]
	v_mul_f64 v[152:153], v[152:153], v[182:183]
	buffer_store_dword v180, off, s[24:27], 0 offset:1508 ; 4-byte Folded Spill
	buffer_store_dword v181, off, s[24:27], 0 offset:1512 ; 4-byte Folded Spill
	;; [unrolled: 1-line block ×4, first 2 shown]
	v_fma_f64 v[170:171], v[154:155], v[180:181], v[152:153]
	s_waitcnt lgkmcnt(31)
	v_mul_f64 v[152:153], v[134:135], v[174:175]
	v_fma_f64 v[184:185], v[132:133], v[172:173], -v[152:153]
	v_mul_f64 v[132:133], v[132:133], v[174:175]
	buffer_store_dword v172, off, s[24:27], 0 offset:1492 ; 4-byte Folded Spill
	buffer_store_dword v173, off, s[24:27], 0 offset:1496 ; 4-byte Folded Spill
	;; [unrolled: 1-line block ×4, first 2 shown]
	global_load_dwordx4 v[152:155], v[164:165], off offset:1568
	v_fma_f64 v[186:187], v[134:135], v[172:173], v[132:133]
	s_waitcnt vmcnt(0) lgkmcnt(30)
	v_mul_f64 v[132:133], v[130:131], v[154:155]
	v_fma_f64 v[172:173], v[128:129], v[152:153], -v[132:133]
	v_mul_f64 v[128:129], v[128:129], v[154:155]
	buffer_store_dword v152, off, s[24:27], 0 offset:1556 ; 4-byte Folded Spill
	buffer_store_dword v153, off, s[24:27], 0 offset:1560 ; 4-byte Folded Spill
	buffer_store_dword v154, off, s[24:27], 0 offset:1564 ; 4-byte Folded Spill
	buffer_store_dword v155, off, s[24:27], 0 offset:1568 ; 4-byte Folded Spill
	v_fma_f64 v[174:175], v[130:131], v[152:153], v[128:129]
	v_add_co_u32 v128, s0, 0x15e0, v196
	v_add_co_ci_u32_e64 v129, s0, 0, v197, s0
	v_add_co_u32 v130, s0, 0x1000, v196
	v_add_co_ci_u32_e64 v131, s0, 0, v197, s0
	s_clause 0x3
	global_load_dwordx4 v[162:165], v[130:131], off offset:1504
	global_load_dwordx4 v[152:155], v[128:129], off offset:48
	global_load_dwordx4 v[156:159], v[128:129], off offset:32
	global_load_dwordx4 v[180:183], v[128:129], off offset:16
	s_waitcnt vmcnt(3) lgkmcnt(28)
	v_mul_f64 v[128:129], v[150:151], v[164:165]
	v_fma_f64 v[134:135], v[148:149], v[162:163], -v[128:129]
	v_mul_f64 v[128:129], v[148:149], v[164:165]
	buffer_store_dword v162, off, s[24:27], 0 offset:1604 ; 4-byte Folded Spill
	buffer_store_dword v163, off, s[24:27], 0 offset:1608 ; 4-byte Folded Spill
	buffer_store_dword v164, off, s[24:27], 0 offset:1612 ; 4-byte Folded Spill
	buffer_store_dword v165, off, s[24:27], 0 offset:1616 ; 4-byte Folded Spill
	v_fma_f64 v[252:253], v[150:151], v[162:163], v[128:129]
	s_waitcnt vmcnt(0) lgkmcnt(27)
	v_mul_f64 v[128:129], v[146:147], v[182:183]
	v_fma_f64 v[148:149], v[144:145], v[180:181], -v[128:129]
	v_mul_f64 v[128:129], v[144:145], v[182:183]
	buffer_store_dword v180, off, s[24:27], 0 offset:1620 ; 4-byte Folded Spill
	buffer_store_dword v181, off, s[24:27], 0 offset:1624 ; 4-byte Folded Spill
	buffer_store_dword v182, off, s[24:27], 0 offset:1628 ; 4-byte Folded Spill
	buffer_store_dword v183, off, s[24:27], 0 offset:1632 ; 4-byte Folded Spill
	v_fma_f64 v[150:151], v[146:147], v[180:181], v[128:129]
	s_waitcnt lgkmcnt(26)
	v_mul_f64 v[128:129], v[142:143], v[158:159]
	v_fma_f64 v[254:255], v[140:141], v[156:157], -v[128:129]
	v_mul_f64 v[128:129], v[140:141], v[158:159]
	buffer_store_dword v156, off, s[24:27], 0 offset:1588 ; 4-byte Folded Spill
	buffer_store_dword v157, off, s[24:27], 0 offset:1592 ; 4-byte Folded Spill
	buffer_store_dword v158, off, s[24:27], 0 offset:1596 ; 4-byte Folded Spill
	buffer_store_dword v159, off, s[24:27], 0 offset:1600 ; 4-byte Folded Spill
	v_fma_f64 v[132:133], v[142:143], v[156:157], v[128:129]
	s_waitcnt lgkmcnt(25)
	v_mul_f64 v[128:129], v[138:139], v[154:155]
	v_fma_f64 v[142:143], v[136:137], v[152:153], -v[128:129]
	v_mul_f64 v[128:129], v[136:137], v[154:155]
	buffer_store_dword v152, off, s[24:27], 0 offset:1572 ; 4-byte Folded Spill
	buffer_store_dword v153, off, s[24:27], 0 offset:1576 ; 4-byte Folded Spill
	buffer_store_dword v154, off, s[24:27], 0 offset:1580 ; 4-byte Folded Spill
	buffer_store_dword v155, off, s[24:27], 0 offset:1584 ; 4-byte Folded Spill
	v_fma_f64 v[144:145], v[138:139], v[152:153], v[128:129]
	global_load_dwordx4 v[136:139], v[130:131], off offset:1568
	s_waitcnt vmcnt(0) lgkmcnt(24)
	v_mul_f64 v[128:129], v[126:127], v[138:139]
	v_fma_f64 v[180:181], v[124:125], v[136:137], -v[128:129]
	v_mul_f64 v[124:125], v[124:125], v[138:139]
	buffer_store_dword v136, off, s[24:27], 0 offset:1636 ; 4-byte Folded Spill
	buffer_store_dword v137, off, s[24:27], 0 offset:1640 ; 4-byte Folded Spill
	buffer_store_dword v138, off, s[24:27], 0 offset:1644 ; 4-byte Folded Spill
	buffer_store_dword v139, off, s[24:27], 0 offset:1648 ; 4-byte Folded Spill
	v_fma_f64 v[182:183], v[126:127], v[136:137], v[124:125]
	v_add_co_u32 v124, s0, 0x28a0, v196
	v_add_co_ci_u32_e64 v125, s0, 0, v197, s0
	v_add_co_u32 v126, s0, 0x2800, v196
	v_add_co_ci_u32_e64 v127, s0, 0, v197, s0
	s_clause 0x3
	global_load_dwordx4 v[162:165], v[126:127], off offset:160
	global_load_dwordx4 v[128:131], v[124:125], off offset:48
	global_load_dwordx4 v[152:155], v[124:125], off offset:32
	global_load_dwordx4 v[156:159], v[124:125], off offset:16
	s_waitcnt vmcnt(3) lgkmcnt(22)
	v_mul_f64 v[124:125], v[122:123], v[164:165]
	v_fma_f64 v[138:139], v[120:121], v[162:163], -v[124:125]
	v_mul_f64 v[120:121], v[120:121], v[164:165]
	buffer_store_dword v162, off, s[24:27], 0 offset:1700 ; 4-byte Folded Spill
	buffer_store_dword v163, off, s[24:27], 0 offset:1704 ; 4-byte Folded Spill
	buffer_store_dword v164, off, s[24:27], 0 offset:1708 ; 4-byte Folded Spill
	buffer_store_dword v165, off, s[24:27], 0 offset:1712 ; 4-byte Folded Spill
	v_fma_f64 v[140:141], v[122:123], v[162:163], v[120:121]
	s_waitcnt vmcnt(0) lgkmcnt(21)
	v_mul_f64 v[120:121], v[118:119], v[158:159]
	v_fma_f64 v[162:163], v[116:117], v[156:157], -v[120:121]
	v_mul_f64 v[116:117], v[116:117], v[158:159]
	buffer_store_dword v156, off, s[24:27], 0 offset:1684 ; 4-byte Folded Spill
	buffer_store_dword v157, off, s[24:27], 0 offset:1688 ; 4-byte Folded Spill
	buffer_store_dword v158, off, s[24:27], 0 offset:1692 ; 4-byte Folded Spill
	buffer_store_dword v159, off, s[24:27], 0 offset:1696 ; 4-byte Folded Spill
	v_fma_f64 v[156:157], v[118:119], v[156:157], v[116:117]
	s_waitcnt lgkmcnt(20)
	v_mul_f64 v[116:117], v[114:115], v[154:155]
	v_fma_f64 v[146:147], v[112:113], v[152:153], -v[116:117]
	v_mul_f64 v[112:113], v[112:113], v[154:155]
	buffer_store_dword v152, off, s[24:27], 0 offset:1668 ; 4-byte Folded Spill
	buffer_store_dword v153, off, s[24:27], 0 offset:1672 ; 4-byte Folded Spill
	buffer_store_dword v154, off, s[24:27], 0 offset:1676 ; 4-byte Folded Spill
	buffer_store_dword v155, off, s[24:27], 0 offset:1680 ; 4-byte Folded Spill
	v_fma_f64 v[136:137], v[114:115], v[152:153], v[112:113]
	s_waitcnt lgkmcnt(19)
	v_mul_f64 v[112:113], v[110:111], v[130:131]
	v_fma_f64 v[158:159], v[108:109], v[128:129], -v[112:113]
	v_mul_f64 v[108:109], v[108:109], v[130:131]
	buffer_store_dword v128, off, s[24:27], 0 offset:1652 ; 4-byte Folded Spill
	buffer_store_dword v129, off, s[24:27], 0 offset:1656 ; 4-byte Folded Spill
	buffer_store_dword v130, off, s[24:27], 0 offset:1660 ; 4-byte Folded Spill
	buffer_store_dword v131, off, s[24:27], 0 offset:1664 ; 4-byte Folded Spill
	v_fma_f64 v[164:165], v[110:111], v[128:129], v[108:109]
	global_load_dwordx4 v[110:113], v[126:127], off offset:224
	;; [unrolled: 55-line block ×3, first 2 shown]
	s_waitcnt vmcnt(0) lgkmcnt(12)
	v_mul_f64 v[88:89], v[86:87], v[92:93]
	v_fma_f64 v[120:121], v[84:85], v[90:91], -v[88:89]
	v_mul_f64 v[84:85], v[84:85], v[92:93]
	buffer_store_dword v90, off, s[24:27], 0 offset:1796 ; 4-byte Folded Spill
	buffer_store_dword v91, off, s[24:27], 0 offset:1800 ; 4-byte Folded Spill
	;; [unrolled: 1-line block ×4, first 2 shown]
	v_fma_f64 v[122:123], v[86:87], v[90:91], v[84:85]
	v_add_co_u32 v84, s0, 0x4e20, v196
	v_add_co_ci_u32_e64 v85, s0, 0, v197, s0
	v_add_co_u32 v86, s0, 0x4800, v196
	v_add_co_ci_u32_e64 v87, s0, 0, v197, s0
	s_clause 0x3
	global_load_dwordx4 v[192:195], v[86:87], off offset:1568
	global_load_dwordx4 v[88:91], v[84:85], off offset:48
	;; [unrolled: 1-line block ×4, first 2 shown]
	s_waitcnt vmcnt(3) lgkmcnt(10)
	v_mul_f64 v[84:85], v[82:83], v[194:195]
	v_fma_f64 v[130:131], v[80:81], v[192:193], -v[84:85]
	v_mul_f64 v[80:81], v[80:81], v[194:195]
	v_fma_f64 v[124:125], v[82:83], v[192:193], v[80:81]
	s_waitcnt vmcnt(0) lgkmcnt(9)
	v_mul_f64 v[80:81], v[78:79], v[98:99]
	v_fma_f64 v[244:245], v[76:77], v[96:97], -v[80:81]
	v_mul_f64 v[76:77], v[76:77], v[98:99]
	buffer_store_dword v96, off, s[24:27], 0 offset:1844 ; 4-byte Folded Spill
	buffer_store_dword v97, off, s[24:27], 0 offset:1848 ; 4-byte Folded Spill
	;; [unrolled: 1-line block ×4, first 2 shown]
	v_fma_f64 v[246:247], v[78:79], v[96:97], v[76:77]
	s_waitcnt lgkmcnt(8)
	v_mul_f64 v[76:77], v[74:75], v[94:95]
	v_fma_f64 v[126:127], v[72:73], v[92:93], -v[76:77]
	v_mul_f64 v[72:73], v[72:73], v[94:95]
	buffer_store_dword v92, off, s[24:27], 0 offset:1828 ; 4-byte Folded Spill
	buffer_store_dword v93, off, s[24:27], 0 offset:1832 ; 4-byte Folded Spill
	;; [unrolled: 1-line block ×4, first 2 shown]
	v_fma_f64 v[128:129], v[74:75], v[92:93], v[72:73]
	s_waitcnt lgkmcnt(7)
	v_mul_f64 v[72:73], v[70:71], v[90:91]
	v_fma_f64 v[248:249], v[68:69], v[88:89], -v[72:73]
	v_mul_f64 v[68:69], v[68:69], v[90:91]
	buffer_store_dword v88, off, s[24:27], 0 offset:1812 ; 4-byte Folded Spill
	buffer_store_dword v89, off, s[24:27], 0 offset:1816 ; 4-byte Folded Spill
	;; [unrolled: 1-line block ×4, first 2 shown]
	global_load_dwordx4 v[200:203], v[86:87], off offset:1632
	v_fma_f64 v[250:251], v[70:71], v[88:89], v[68:69]
	s_waitcnt vmcnt(0) lgkmcnt(6)
	v_mul_f64 v[68:69], v[66:67], v[202:203]
	v_fma_f64 v[240:241], v[64:65], v[200:201], -v[68:69]
	v_mul_f64 v[64:65], v[64:65], v[202:203]
	v_fma_f64 v[242:243], v[66:67], v[200:201], v[64:65]
	v_add_co_u32 v64, s0, 0x60e0, v196
	v_add_co_ci_u32_e64 v65, s0, 0, v197, s0
	v_add_co_u32 v66, s0, 0x6000, v196
	v_add_co_ci_u32_e64 v67, s0, 0, v197, s0
	s_clause 0x4
	global_load_dwordx4 v[208:211], v[66:67], off offset:224
	global_load_dwordx4 v[196:199], v[64:65], off offset:48
	;; [unrolled: 1-line block ×5, first 2 shown]
	s_waitcnt vmcnt(4) lgkmcnt(4)
	v_mul_f64 v[64:65], v[62:63], v[210:211]
	v_fma_f64 v[226:227], v[60:61], v[208:209], -v[64:65]
	v_mul_f64 v[60:61], v[60:61], v[210:211]
	v_fma_f64 v[220:221], v[62:63], v[208:209], v[60:61]
	s_waitcnt vmcnt(1) lgkmcnt(3)
	v_mul_f64 v[60:61], v[58:59], v[214:215]
	v_fma_f64 v[228:229], v[56:57], v[212:213], -v[60:61]
	v_mul_f64 v[56:57], v[56:57], v[214:215]
	v_fma_f64 v[230:231], v[58:59], v[212:213], v[56:57]
	s_waitcnt lgkmcnt(2)
	v_mul_f64 v[56:57], v[54:55], v[206:207]
	v_fma_f64 v[222:223], v[52:53], v[204:205], -v[56:57]
	v_mul_f64 v[52:53], v[52:53], v[206:207]
	v_fma_f64 v[224:225], v[54:55], v[204:205], v[52:53]
	s_waitcnt lgkmcnt(1)
	v_mul_f64 v[52:53], v[50:51], v[198:199]
	v_fma_f64 v[232:233], v[48:49], v[196:197], -v[52:53]
	v_mul_f64 v[48:49], v[48:49], v[198:199]
	v_fma_f64 v[234:235], v[50:51], v[196:197], v[48:49]
	s_waitcnt vmcnt(0) lgkmcnt(0)
	v_mul_f64 v[48:49], v[46:47], v[218:219]
	v_fma_f64 v[236:237], v[44:45], v[216:217], -v[48:49]
	v_mul_f64 v[44:45], v[44:45], v[218:219]
	v_fma_f64 v[188:189], v[46:47], v[216:217], v[44:45]
	v_add_f64 v[44:45], v[40:41], v[176:177]
	v_add_f64 v[52:53], v[44:45], v[184:185]
	;; [unrolled: 1-line block ×3, first 2 shown]
	v_fma_f64 v[40:41], v[44:45], -0.5, v[40:41]
	v_add_f64 v[44:45], v[178:179], -v[186:187]
	v_fma_f64 v[54:55], v[44:45], s[14:15], v[40:41]
	v_fma_f64 v[58:59], v[44:45], s[12:13], v[40:41]
	v_add_f64 v[40:41], v[42:43], v[178:179]
	v_add_f64 v[44:45], v[168:169], -v[172:173]
	v_add_f64 v[62:63], v[40:41], v[186:187]
	v_add_f64 v[40:41], v[178:179], v[186:187]
	v_fma_f64 v[40:41], v[40:41], -0.5, v[42:43]
	v_add_f64 v[42:43], v[176:177], -v[184:185]
	v_fma_f64 v[64:65], v[42:43], s[12:13], v[40:41]
	v_fma_f64 v[66:67], v[42:43], s[14:15], v[40:41]
	v_add_f64 v[40:41], v[166:167], v[168:169]
	v_add_f64 v[42:43], v[170:171], -v[174:175]
	v_add_f64 v[56:57], v[40:41], v[172:173]
	v_add_f64 v[40:41], v[168:169], v[172:173]
	;; [unrolled: 1-line block ×3, first 2 shown]
	v_fma_f64 v[40:41], v[40:41], -0.5, v[166:167]
	v_fma_f64 v[46:47], v[42:43], s[14:15], v[40:41]
	v_fma_f64 v[42:43], v[42:43], s[12:13], v[40:41]
	v_add_f64 v[40:41], v[160:161], v[170:171]
	v_add_f64 v[68:69], v[40:41], v[174:175]
	;; [unrolled: 1-line block ×4, first 2 shown]
	v_fma_f64 v[40:41], v[40:41], -0.5, v[160:161]
	v_add_f64 v[62:63], v[62:63], -v[68:69]
	v_fma_f64 v[60:61], v[44:45], s[12:13], v[40:41]
	v_fma_f64 v[70:71], v[44:45], s[14:15], v[40:41]
	v_mul_f64 v[40:41], v[60:61], s[14:15]
	v_fma_f64 v[72:73], v[46:47], 0.5, v[40:41]
	v_mul_f64 v[40:41], v[42:43], -0.5
	v_mul_f64 v[46:47], v[46:47], s[12:13]
	v_add_f64 v[44:45], v[54:55], v[72:73]
	v_fma_f64 v[74:75], v[70:71], s[14:15], v[40:41]
	v_fma_f64 v[76:77], v[60:61], 0.5, v[46:47]
	v_mul_f64 v[60:61], v[70:71], -0.5
	v_add_f64 v[40:41], v[58:59], v[74:75]
	v_add_f64 v[46:47], v[64:65], v[76:77]
	v_fma_f64 v[70:71], v[42:43], s[12:13], v[60:61]
	v_add_f64 v[60:61], v[52:53], -v[56:57]
	v_add_f64 v[52:53], v[58:59], -v[74:75]
	;; [unrolled: 1-line block ×3, first 2 shown]
	v_add_f64 v[64:65], v[36:37], v[148:149]
	v_add_f64 v[56:57], v[54:55], -v[72:73]
	v_add_f64 v[42:43], v[66:67], v[70:71]
	v_add_f64 v[54:55], v[66:67], -v[70:71]
	v_add_f64 v[72:73], v[64:65], v[142:143]
	v_add_f64 v[64:65], v[148:149], v[142:143]
	v_fma_f64 v[36:37], v[64:65], -0.5, v[36:37]
	v_add_f64 v[64:65], v[150:151], -v[144:145]
	v_fma_f64 v[74:75], v[64:65], s[14:15], v[36:37]
	v_fma_f64 v[78:79], v[64:65], s[12:13], v[36:37]
	v_add_f64 v[36:37], v[38:39], v[150:151]
	v_add_f64 v[64:65], v[254:255], -v[180:181]
	v_add_f64 v[82:83], v[36:37], v[144:145]
	v_add_f64 v[36:37], v[150:151], v[144:145]
	v_fma_f64 v[36:37], v[36:37], -0.5, v[38:39]
	v_add_f64 v[38:39], v[148:149], -v[142:143]
	v_fma_f64 v[84:85], v[38:39], s[12:13], v[36:37]
	v_fma_f64 v[86:87], v[38:39], s[14:15], v[36:37]
	v_add_f64 v[36:37], v[134:135], v[254:255]
	v_add_f64 v[38:39], v[132:133], -v[182:183]
	v_add_f64 v[76:77], v[36:37], v[180:181]
	v_add_f64 v[36:37], v[254:255], v[180:181]
	;; [unrolled: 1-line block ×3, first 2 shown]
	v_fma_f64 v[36:37], v[36:37], -0.5, v[134:135]
	v_fma_f64 v[66:67], v[38:39], s[14:15], v[36:37]
	v_fma_f64 v[38:39], v[38:39], s[12:13], v[36:37]
	v_add_f64 v[36:37], v[252:253], v[132:133]
	v_add_f64 v[88:89], v[36:37], v[182:183]
	v_add_f64 v[36:37], v[132:133], v[182:183]
	v_add_f64 v[70:71], v[82:83], v[88:89]
	v_fma_f64 v[36:37], v[36:37], -0.5, v[252:253]
	v_add_f64 v[82:83], v[82:83], -v[88:89]
	v_fma_f64 v[80:81], v[64:65], s[12:13], v[36:37]
	v_fma_f64 v[90:91], v[64:65], s[14:15], v[36:37]
	v_mul_f64 v[36:37], v[80:81], s[14:15]
	v_fma_f64 v[92:93], v[66:67], 0.5, v[36:37]
	v_mul_f64 v[36:37], v[38:39], -0.5
	v_mul_f64 v[66:67], v[66:67], s[12:13]
	v_add_f64 v[64:65], v[74:75], v[92:93]
	v_fma_f64 v[94:95], v[90:91], s[14:15], v[36:37]
	v_fma_f64 v[96:97], v[80:81], 0.5, v[66:67]
	v_mul_f64 v[80:81], v[90:91], -0.5
	v_add_f64 v[36:37], v[78:79], v[94:95]
	v_add_f64 v[66:67], v[84:85], v[96:97]
	v_fma_f64 v[90:91], v[38:39], s[12:13], v[80:81]
	v_add_f64 v[80:81], v[72:73], -v[76:77]
	v_add_f64 v[72:73], v[78:79], -v[94:95]
	;; [unrolled: 1-line block ×3, first 2 shown]
	v_add_f64 v[84:85], v[32:33], v[162:163]
	v_add_f64 v[76:77], v[74:75], -v[92:93]
	v_add_f64 v[38:39], v[86:87], v[90:91]
	v_add_f64 v[74:75], v[86:87], -v[90:91]
	v_add_f64 v[92:93], v[84:85], v[158:159]
	v_add_f64 v[84:85], v[162:163], v[158:159]
	v_fma_f64 v[32:33], v[84:85], -0.5, v[32:33]
	v_add_f64 v[84:85], v[156:157], -v[164:165]
	v_fma_f64 v[94:95], v[84:85], s[14:15], v[32:33]
	v_fma_f64 v[98:99], v[84:85], s[12:13], v[32:33]
	v_add_f64 v[32:33], v[34:35], v[156:157]
	v_add_f64 v[84:85], v[146:147], -v[152:153]
	v_add_f64 v[102:103], v[32:33], v[164:165]
	v_add_f64 v[32:33], v[156:157], v[164:165]
	v_fma_f64 v[32:33], v[32:33], -0.5, v[34:35]
	v_add_f64 v[34:35], v[162:163], -v[158:159]
	v_fma_f64 v[132:133], v[34:35], s[12:13], v[32:33]
	v_fma_f64 v[134:135], v[34:35], s[14:15], v[32:33]
	v_add_f64 v[32:33], v[138:139], v[146:147]
	v_add_f64 v[34:35], v[136:137], -v[154:155]
	v_add_f64 v[96:97], v[32:33], v[152:153]
	v_add_f64 v[32:33], v[146:147], v[152:153]
	v_add_f64 v[88:89], v[92:93], v[96:97]
	v_fma_f64 v[32:33], v[32:33], -0.5, v[138:139]
	v_fma_f64 v[86:87], v[34:35], s[14:15], v[32:33]
	v_fma_f64 v[34:35], v[34:35], s[12:13], v[32:33]
	v_add_f64 v[32:33], v[140:141], v[136:137]
	v_add_f64 v[138:139], v[32:33], v[154:155]
	v_add_f64 v[32:33], v[136:137], v[154:155]
	v_add_f64 v[90:91], v[102:103], v[138:139]
	v_fma_f64 v[32:33], v[32:33], -0.5, v[140:141]
	v_add_f64 v[102:103], v[102:103], -v[138:139]
	v_fma_f64 v[100:101], v[84:85], s[12:13], v[32:33]
	v_fma_f64 v[136:137], v[84:85], s[14:15], v[32:33]
	v_mul_f64 v[32:33], v[100:101], s[14:15]
	v_fma_f64 v[140:141], v[86:87], 0.5, v[32:33]
	v_mul_f64 v[86:87], v[86:87], s[12:13]
	v_mul_f64 v[32:33], v[34:35], -0.5
	v_add_f64 v[84:85], v[94:95], v[140:141]
	v_fma_f64 v[144:145], v[100:101], 0.5, v[86:87]
	v_mul_f64 v[100:101], v[136:137], -0.5
	v_fma_f64 v[142:143], v[136:137], s[14:15], v[32:33]
	v_add_f64 v[86:87], v[132:133], v[144:145]
	v_fma_f64 v[136:137], v[34:35], s[12:13], v[100:101]
	v_add_f64 v[100:101], v[92:93], -v[96:97]
	v_add_f64 v[96:97], v[94:95], -v[140:141]
	v_add_f64 v[32:33], v[98:99], v[142:143]
	v_add_f64 v[92:93], v[98:99], -v[142:143]
	v_add_f64 v[98:99], v[132:133], -v[144:145]
	v_add_f64 v[132:133], v[28:29], v[112:113]
	v_add_f64 v[34:35], v[134:135], v[136:137]
	v_add_f64 v[94:95], v[134:135], -v[136:137]
	v_add_f64 v[134:135], v[112:113], v[116:117]
	v_add_f64 v[132:133], v[132:133], v[116:117]
	v_fma_f64 v[28:29], v[134:135], -0.5, v[28:29]
	v_add_f64 v[134:135], v[114:115], -v[118:119]
	v_fma_f64 v[136:137], v[134:135], s[14:15], v[28:29]
	v_fma_f64 v[134:135], v[134:135], s[12:13], v[28:29]
	v_add_f64 v[28:29], v[30:31], v[114:115]
	v_add_f64 v[138:139], v[28:29], v[118:119]
	;; [unrolled: 1-line block ×3, first 2 shown]
	v_fma_f64 v[28:29], v[28:29], -0.5, v[30:31]
	v_add_f64 v[30:31], v[112:113], -v[116:117]
	v_fma_f64 v[114:115], v[30:31], s[12:13], v[28:29]
	v_fma_f64 v[140:141], v[30:31], s[14:15], v[28:29]
	v_add_f64 v[28:29], v[110:111], v[106:107]
	v_add_f64 v[30:31], v[108:109], -v[122:123]
	v_add_f64 v[112:113], v[28:29], v[120:121]
	v_add_f64 v[28:29], v[106:107], v[120:121]
	v_fma_f64 v[28:29], v[28:29], -0.5, v[110:111]
	v_fma_f64 v[116:117], v[30:31], s[14:15], v[28:29]
	v_fma_f64 v[30:31], v[30:31], s[12:13], v[28:29]
	v_add_f64 v[28:29], v[104:105], v[108:109]
	v_add_f64 v[118:119], v[28:29], v[122:123]
	;; [unrolled: 1-line block ×5, first 2 shown]
	v_fma_f64 v[28:29], v[28:29], -0.5, v[104:105]
	v_add_f64 v[104:105], v[106:107], -v[120:121]
	v_fma_f64 v[106:107], v[104:105], s[12:13], v[28:29]
	v_fma_f64 v[120:121], v[104:105], s[14:15], v[28:29]
	v_mul_f64 v[28:29], v[106:107], s[14:15]
	v_fma_f64 v[122:123], v[116:117], 0.5, v[28:29]
	v_mul_f64 v[28:29], v[30:31], -0.5
	v_mul_f64 v[116:117], v[116:117], s[12:13]
	v_add_f64 v[104:105], v[136:137], v[122:123]
	v_fma_f64 v[142:143], v[120:121], s[14:15], v[28:29]
	v_fma_f64 v[144:145], v[106:107], 0.5, v[116:117]
	v_mul_f64 v[116:117], v[120:121], -0.5
	v_add_f64 v[120:121], v[132:133], -v[112:113]
	v_add_f64 v[132:133], v[24:25], v[244:245]
	v_add_f64 v[28:29], v[134:135], v[142:143]
	v_add_f64 v[112:113], v[134:135], -v[142:143]
	v_add_f64 v[134:135], v[244:245], v[248:249]
	v_fma_f64 v[146:147], v[30:31], s[12:13], v[116:117]
	v_add_f64 v[116:117], v[136:137], -v[122:123]
	v_add_f64 v[122:123], v[138:139], -v[118:119]
	v_add_f64 v[106:107], v[114:115], v[144:145]
	v_add_f64 v[118:119], v[114:115], -v[144:145]
	v_add_f64 v[132:133], v[132:133], v[248:249]
	v_fma_f64 v[24:25], v[134:135], -0.5, v[24:25]
	v_add_f64 v[134:135], v[246:247], -v[250:251]
	v_add_f64 v[30:31], v[140:141], v[146:147]
	v_add_f64 v[114:115], v[140:141], -v[146:147]
	v_fma_f64 v[136:137], v[134:135], s[14:15], v[24:25]
	v_fma_f64 v[134:135], v[134:135], s[12:13], v[24:25]
	v_add_f64 v[24:25], v[26:27], v[246:247]
	v_add_f64 v[138:139], v[24:25], v[250:251]
	;; [unrolled: 1-line block ×3, first 2 shown]
	v_fma_f64 v[24:25], v[24:25], -0.5, v[26:27]
	v_add_f64 v[26:27], v[244:245], -v[248:249]
	v_fma_f64 v[140:141], v[26:27], s[12:13], v[24:25]
	v_fma_f64 v[142:143], v[26:27], s[14:15], v[24:25]
	v_add_f64 v[24:25], v[130:131], v[126:127]
	v_add_f64 v[26:27], v[128:129], -v[242:243]
	v_add_f64 v[144:145], v[24:25], v[240:241]
	v_add_f64 v[24:25], v[126:127], v[240:241]
	;; [unrolled: 1-line block ×3, first 2 shown]
	v_fma_f64 v[24:25], v[24:25], -0.5, v[130:131]
	v_fma_f64 v[130:131], v[26:27], s[14:15], v[24:25]
	v_fma_f64 v[26:27], v[26:27], s[12:13], v[24:25]
	v_add_f64 v[24:25], v[124:125], v[128:129]
	v_add_f64 v[146:147], v[24:25], v[242:243]
	;; [unrolled: 1-line block ×4, first 2 shown]
	v_fma_f64 v[24:25], v[24:25], -0.5, v[124:125]
	v_add_f64 v[124:125], v[126:127], -v[240:241]
	v_fma_f64 v[126:127], v[124:125], s[12:13], v[24:25]
	v_fma_f64 v[128:129], v[124:125], s[14:15], v[24:25]
	v_mul_f64 v[24:25], v[126:127], s[14:15]
	v_fma_f64 v[148:149], v[130:131], 0.5, v[24:25]
	v_mul_f64 v[24:25], v[26:27], -0.5
	v_mul_f64 v[130:131], v[130:131], s[12:13]
	v_add_f64 v[124:125], v[136:137], v[148:149]
	v_fma_f64 v[150:151], v[128:129], s[14:15], v[24:25]
	v_mul_f64 v[128:129], v[128:129], -0.5
	v_add_f64 v[252:253], v[136:137], -v[148:149]
	v_add_f64 v[148:149], v[224:225], v[188:189]
	v_fma_f64 v[152:153], v[126:127], 0.5, v[130:131]
	v_add_f64 v[130:131], v[138:139], -v[146:147]
	v_add_f64 v[138:139], v[230:231], v[234:235]
	v_add_f64 v[24:25], v[134:135], v[150:151]
	v_fma_f64 v[154:155], v[26:27], s[12:13], v[128:129]
	v_add_f64 v[248:249], v[134:135], -v[150:151]
	v_fma_f64 v[148:149], v[148:149], -0.5, v[220:221]
	v_add_f64 v[150:151], v[222:223], -v[236:237]
	v_add_f64 v[126:127], v[140:141], v[152:153]
	v_add_f64 v[128:129], v[132:133], -v[144:145]
	v_add_f64 v[254:255], v[140:141], -v[152:153]
	v_add_f64 v[134:135], v[228:229], v[232:233]
	v_add_f64 v[144:145], v[224:225], -v[188:189]
	v_add_f64 v[132:133], v[20:21], v[228:229]
	v_add_f64 v[26:27], v[142:143], v[154:155]
	v_add_f64 v[250:251], v[142:143], -v[154:155]
	v_add_f64 v[142:143], v[222:223], v[236:237]
	v_fma_f64 v[152:153], v[150:151], s[12:13], v[148:149]
	v_fma_f64 v[154:155], v[150:151], s[14:15], v[148:149]
	v_fma_f64 v[20:21], v[134:135], -0.5, v[20:21]
	v_add_f64 v[134:135], v[230:231], -v[234:235]
	v_add_f64 v[132:133], v[132:133], v[232:233]
	v_fma_f64 v[142:143], v[142:143], -0.5, v[226:227]
	v_mul_f64 v[150:151], v[152:153], s[14:15]
	v_fma_f64 v[136:137], v[134:135], s[14:15], v[20:21]
	v_fma_f64 v[20:21], v[134:135], s[12:13], v[20:21]
	v_add_f64 v[134:135], v[22:23], v[230:231]
	v_fma_f64 v[22:23], v[138:139], -0.5, v[22:23]
	v_add_f64 v[138:139], v[228:229], -v[232:233]
	v_fma_f64 v[146:147], v[144:145], s[14:15], v[142:143]
	v_fma_f64 v[142:143], v[144:145], s[12:13], v[142:143]
	v_add_f64 v[144:145], v[220:221], v[224:225]
	v_add_f64 v[134:135], v[134:135], v[234:235]
	v_fma_f64 v[140:141], v[138:139], s[12:13], v[22:23]
	v_fma_f64 v[22:23], v[138:139], s[14:15], v[22:23]
	v_add_f64 v[138:139], v[226:227], v[222:223]
	v_fma_f64 v[156:157], v[146:147], 0.5, v[150:151]
	v_mul_f64 v[146:147], v[146:147], s[12:13]
	v_mul_f64 v[150:151], v[142:143], -0.5
	v_add_f64 v[144:145], v[144:145], v[188:189]
	v_add_f64 v[138:139], v[138:139], v[236:237]
	;; [unrolled: 1-line block ×3, first 2 shown]
	v_fma_f64 v[146:147], v[152:153], 0.5, v[146:147]
	v_mul_f64 v[152:153], v[154:155], -0.5
	v_fma_f64 v[158:159], v[154:155], s[14:15], v[150:151]
	v_add_f64 v[150:151], v[134:135], v[144:145]
	v_add_f64 v[240:241], v[136:137], -v[156:157]
	v_add_f64 v[234:235], v[134:135], -v[144:145]
	v_add_f64 v[148:149], v[132:133], v[138:139]
	v_add_f64 v[232:233], v[132:133], -v[138:139]
	v_add_f64 v[222:223], v[140:141], v[146:147]
	v_fma_f64 v[142:143], v[142:143], s[12:13], v[152:153]
	v_add_f64 v[224:225], v[20:21], v[158:159]
	v_add_f64 v[228:229], v[20:21], -v[158:159]
	v_add_f64 v[242:243], v[140:141], -v[146:147]
	v_add_f64 v[226:227], v[22:23], v[142:143]
	v_add_f64 v[230:231], v[22:23], -v[142:143]
	ds_write_b128 v238, v[48:51]
	ds_write_b128 v238, v[44:47] offset:5760
	ds_write_b128 v238, v[40:43] offset:11520
	;; [unrolled: 1-line block ×35, first 2 shown]
	s_waitcnt lgkmcnt(0)
	s_waitcnt_vscnt null, 0x0
	s_barrier
	buffer_gl0_inv
	buffer_load_dword v24, off, s[24:27], 0 ; 4-byte Folded Reload
	ds_read_b128 v[20:23], v238
	s_waitcnt vmcnt(0)
	v_lshlrev_b32_e32 v38, 4, v24
	global_load_dwordx4 v[24:27], v38, s[4:5]
	v_add_co_u32 v42, s0, s4, v38
	v_add_co_ci_u32_e64 v43, null, s5, 0, s0
	v_add_co_u32 v32, s0, 0x800, v42
	v_add_co_ci_u32_e64 v33, s0, 0, v43, s0
	s_waitcnt vmcnt(0) lgkmcnt(0)
	v_mul_f64 v[28:29], v[22:23], v[26:27]
	v_fma_f64 v[28:29], v[20:21], v[24:25], -v[28:29]
	v_mul_f64 v[20:21], v[20:21], v[26:27]
	v_fma_f64 v[30:31], v[22:23], v[24:25], v[20:21]
	global_load_dwordx4 v[24:27], v[32:33], off offset:1408
	ds_read_b128 v[20:23], v238 offset:3456
	ds_write_b128 v238, v[28:31]
	s_waitcnt vmcnt(0) lgkmcnt(1)
	v_mul_f64 v[28:29], v[22:23], v[26:27]
	v_fma_f64 v[28:29], v[20:21], v[24:25], -v[28:29]
	v_mul_f64 v[20:21], v[20:21], v[26:27]
	v_fma_f64 v[30:31], v[22:23], v[24:25], v[20:21]
	ds_read_b128 v[20:23], v238 offset:6912
	ds_write_b128 v238, v[28:31] offset:3456
	v_add_co_u32 v30, s0, 0x1800, v42
	v_add_co_ci_u32_e64 v31, s0, 0, v43, s0
	global_load_dwordx4 v[24:27], v[30:31], off offset:768
	s_waitcnt vmcnt(0) lgkmcnt(1)
	v_mul_f64 v[28:29], v[22:23], v[26:27]
	v_fma_f64 v[34:35], v[20:21], v[24:25], -v[28:29]
	v_mul_f64 v[20:21], v[20:21], v[26:27]
	v_fma_f64 v[36:37], v[22:23], v[24:25], v[20:21]
	v_add_co_u32 v20, s0, 0x2800, v42
	v_add_co_ci_u32_e64 v21, s0, 0, v43, s0
	ds_read_b128 v[22:25], v238 offset:10368
	global_load_dwordx4 v[26:29], v[20:21], off offset:128
	ds_write_b128 v238, v[34:37] offset:6912
	s_waitcnt vmcnt(0) lgkmcnt(1)
	v_mul_f64 v[34:35], v[24:25], v[28:29]
	v_fma_f64 v[34:35], v[22:23], v[26:27], -v[34:35]
	v_mul_f64 v[22:23], v[22:23], v[28:29]
	v_add_co_u32 v28, s0, 0x3000, v42
	v_add_co_ci_u32_e64 v29, s0, 0, v43, s0
	v_fma_f64 v[36:37], v[24:25], v[26:27], v[22:23]
	ds_read_b128 v[22:25], v238 offset:13824
	ds_write_b128 v238, v[34:37] offset:10368
	global_load_dwordx4 v[34:37], v[28:29], off offset:1536
	s_waitcnt vmcnt(0) lgkmcnt(1)
	v_mul_f64 v[26:27], v[24:25], v[36:37]
	v_fma_f64 v[44:45], v[22:23], v[34:35], -v[26:27]
	v_mul_f64 v[22:23], v[22:23], v[36:37]
	v_add_co_u32 v26, s0, 0x4000, v42
	v_add_co_ci_u32_e64 v27, s0, 0, v43, s0
	v_fma_f64 v[46:47], v[24:25], v[34:35], v[22:23]
	global_load_dwordx4 v[34:37], v[26:27], off offset:896
	ds_read_b128 v[22:25], v238 offset:17280
	ds_write_b128 v238, v[44:47] offset:13824
	s_waitcnt vmcnt(0) lgkmcnt(1)
	v_mul_f64 v[39:40], v[24:25], v[36:37]
	v_fma_f64 v[44:45], v[22:23], v[34:35], -v[39:40]
	v_mul_f64 v[22:23], v[22:23], v[36:37]
	v_fma_f64 v[46:47], v[24:25], v[34:35], v[22:23]
	v_add_co_u32 v22, s0, 0x5000, v42
	v_add_co_ci_u32_e64 v23, s0, 0, v43, s0
	ds_read_b128 v[34:37], v238 offset:20736
	ds_write_b128 v238, v[44:47] offset:17280
	global_load_dwordx4 v[44:47], v[22:23], off offset:256
	s_waitcnt vmcnt(0) lgkmcnt(1)
	v_mul_f64 v[24:25], v[36:37], v[46:47]
	v_fma_f64 v[48:49], v[34:35], v[44:45], -v[24:25]
	v_mul_f64 v[24:25], v[34:35], v[46:47]
	v_fma_f64 v[50:51], v[36:37], v[44:45], v[24:25]
	v_add_co_u32 v24, s0, 0x5800, v42
	v_add_co_ci_u32_e64 v25, s0, 0, v43, s0
	ds_read_b128 v[34:37], v238 offset:24192
	global_load_dwordx4 v[44:47], v[24:25], off offset:1664
	ds_write_b128 v238, v[48:51] offset:20736
	s_waitcnt vmcnt(0) lgkmcnt(1)
	v_mul_f64 v[39:40], v[36:37], v[46:47]
	v_fma_f64 v[48:49], v[34:35], v[44:45], -v[39:40]
	buffer_load_dword v39, off, s[24:27], 0 offset:1448 ; 4-byte Folded Reload
	v_mul_f64 v[34:35], v[34:35], v[46:47]
	v_fma_f64 v[50:51], v[36:37], v[44:45], v[34:35]
	ds_read_b128 v[34:37], v238 offset:27648
	ds_write_b128 v238, v[48:51] offset:24192
	s_waitcnt vmcnt(0)
	global_load_dwordx4 v[44:47], v39, s[4:5]
	s_waitcnt vmcnt(0) lgkmcnt(1)
	v_mul_f64 v[39:40], v[36:37], v[46:47]
	v_fma_f64 v[48:49], v[34:35], v[44:45], -v[39:40]
	v_mul_f64 v[34:35], v[34:35], v[46:47]
	v_fma_f64 v[50:51], v[36:37], v[44:45], v[34:35]
	v_add_co_u32 v36, s0, 0x7800, v42
	v_add_co_ci_u32_e64 v37, s0, 0, v43, s0
	ds_read_b128 v[44:47], v238 offset:31104
	v_add_co_u32 v40, s0, 0x1000, v42
	v_add_co_ci_u32_e64 v41, s0, 0, v43, s0
	v_add_co_u32 v56, s0, 0x3800, v42
	v_add_co_ci_u32_e64 v57, s0, 0, v43, s0
	ds_write_b128 v238, v[48:51] offset:27648
	global_load_dwordx4 v[48:51], v[36:37], off offset:384
	s_waitcnt vmcnt(0) lgkmcnt(1)
	v_mul_f64 v[34:35], v[46:47], v[50:51]
	v_fma_f64 v[52:53], v[44:45], v[48:49], -v[34:35]
	v_mul_f64 v[34:35], v[44:45], v[50:51]
	v_fma_f64 v[54:55], v[46:47], v[48:49], v[34:35]
	global_load_dwordx4 v[48:51], v38, s[4:5] offset:960
	ds_read_b128 v[44:47], v238 offset:960
	ds_write_b128 v238, v[52:55] offset:31104
	s_waitcnt vmcnt(0) lgkmcnt(1)
	v_mul_f64 v[34:35], v[46:47], v[50:51]
	v_fma_f64 v[52:53], v[44:45], v[48:49], -v[34:35]
	v_mul_f64 v[34:35], v[44:45], v[50:51]
	v_fma_f64 v[54:55], v[46:47], v[48:49], v[34:35]
	global_load_dwordx4 v[48:51], v[40:41], off offset:320
	ds_read_b128 v[44:47], v238 offset:4416
	ds_write_b128 v238, v[52:55] offset:960
	s_waitcnt vmcnt(0) lgkmcnt(1)
	v_mul_f64 v[34:35], v[46:47], v[50:51]
	v_fma_f64 v[52:53], v[44:45], v[48:49], -v[34:35]
	v_mul_f64 v[34:35], v[44:45], v[50:51]
	v_fma_f64 v[54:55], v[46:47], v[48:49], v[34:35]
	global_load_dwordx4 v[48:51], v[30:31], off offset:1728
	;; [unrolled: 8-line block ×6, first 2 shown]
	ds_read_b128 v[44:47], v238 offset:21696
	ds_write_b128 v238, v[52:55] offset:18240
	v_add_co_u32 v52, s0, 0x6000, v42
	v_add_co_ci_u32_e64 v53, s0, 0, v43, s0
	s_waitcnt vmcnt(0) lgkmcnt(1)
	v_mul_f64 v[34:35], v[46:47], v[22:23]
	v_mul_f64 v[22:23], v[44:45], v[22:23]
	v_fma_f64 v[48:49], v[44:45], v[20:21], -v[34:35]
	v_fma_f64 v[50:51], v[46:47], v[20:21], v[22:23]
	global_load_dwordx4 v[44:47], v[52:53], off offset:576
	ds_read_b128 v[20:23], v238 offset:25152
	ds_write_b128 v238, v[48:51] offset:21696
	s_waitcnt vmcnt(0) lgkmcnt(1)
	v_mul_f64 v[34:35], v[22:23], v[46:47]
	v_fma_f64 v[48:49], v[20:21], v[44:45], -v[34:35]
	v_mul_f64 v[20:21], v[20:21], v[46:47]
	v_add_co_u32 v34, s0, 0x6800, v42
	v_add_co_ci_u32_e64 v35, s0, 0, v43, s0
	v_fma_f64 v[50:51], v[22:23], v[44:45], v[20:21]
	global_load_dwordx4 v[44:47], v[34:35], off offset:1984
	ds_read_b128 v[20:23], v238 offset:28608
	ds_write_b128 v238, v[48:51] offset:25152
	s_waitcnt vmcnt(0) lgkmcnt(1)
	v_mul_f64 v[48:49], v[22:23], v[46:47]
	v_fma_f64 v[48:49], v[20:21], v[44:45], -v[48:49]
	v_mul_f64 v[20:21], v[20:21], v[46:47]
	v_fma_f64 v[50:51], v[22:23], v[44:45], v[20:21]
	global_load_dwordx4 v[44:47], v[36:37], off offset:1344
	ds_read_b128 v[20:23], v238 offset:32064
	ds_write_b128 v238, v[48:51] offset:28608
	s_waitcnt vmcnt(0) lgkmcnt(1)
	v_mul_f64 v[36:37], v[22:23], v[46:47]
	v_fma_f64 v[48:49], v[20:21], v[44:45], -v[36:37]
	global_load_dwordx4 v[36:39], v38, s[4:5] offset:1920
	v_mul_f64 v[20:21], v[20:21], v[46:47]
	v_fma_f64 v[50:51], v[22:23], v[44:45], v[20:21]
	ds_read_b128 v[20:23], v238 offset:1920
	ds_write_b128 v238, v[48:51] offset:32064
	s_waitcnt vmcnt(0) lgkmcnt(1)
	v_mul_f64 v[44:45], v[22:23], v[38:39]
	v_fma_f64 v[44:45], v[20:21], v[36:37], -v[44:45]
	v_mul_f64 v[20:21], v[20:21], v[38:39]
	v_fma_f64 v[46:47], v[22:23], v[36:37], v[20:21]
	global_load_dwordx4 v[36:39], v[40:41], off offset:1280
	ds_read_b128 v[20:23], v238 offset:5376
	ds_write_b128 v238, v[44:47] offset:1920
	s_waitcnt vmcnt(0) lgkmcnt(1)
	v_mul_f64 v[40:41], v[22:23], v[38:39]
	v_fma_f64 v[44:45], v[20:21], v[36:37], -v[40:41]
	v_mul_f64 v[20:21], v[20:21], v[38:39]
	v_add_co_u32 v40, s0, 0x2000, v42
	v_add_co_ci_u32_e64 v41, s0, 0, v43, s0
	v_fma_f64 v[46:47], v[22:23], v[36:37], v[20:21]
	global_load_dwordx4 v[36:39], v[40:41], off offset:640
	ds_read_b128 v[20:23], v238 offset:8832
	ds_write_b128 v238, v[44:47] offset:5376
	s_waitcnt vmcnt(0) lgkmcnt(1)
	v_mul_f64 v[44:45], v[22:23], v[38:39]
	v_fma_f64 v[44:45], v[20:21], v[36:37], -v[44:45]
	v_mul_f64 v[20:21], v[20:21], v[38:39]
	v_fma_f64 v[46:47], v[22:23], v[36:37], v[20:21]
	buffer_load_dword v36, off, s[24:27], 0 offset:1156 ; 4-byte Folded Reload
	ds_read_b128 v[20:23], v238 offset:12288
	ds_write_b128 v238, v[44:47] offset:8832
	s_waitcnt vmcnt(0)
	global_load_dwordx4 v[36:39], v36, s[4:5]
	s_waitcnt vmcnt(0) lgkmcnt(1)
	v_mul_f64 v[44:45], v[22:23], v[38:39]
	v_fma_f64 v[44:45], v[20:21], v[36:37], -v[44:45]
	v_mul_f64 v[20:21], v[20:21], v[38:39]
	v_fma_f64 v[46:47], v[22:23], v[36:37], v[20:21]
	global_load_dwordx4 v[36:39], v[56:57], off offset:1408
	ds_read_b128 v[20:23], v238 offset:15744
	ds_write_b128 v238, v[44:47] offset:12288
	s_waitcnt vmcnt(0) lgkmcnt(1)
	v_mul_f64 v[44:45], v[22:23], v[38:39]
	v_fma_f64 v[44:45], v[20:21], v[36:37], -v[44:45]
	v_mul_f64 v[20:21], v[20:21], v[38:39]
	v_add_co_u32 v38, s0, 0x4800, v42
	v_add_co_ci_u32_e64 v39, s0, 0, v43, s0
	v_fma_f64 v[46:47], v[22:23], v[36:37], v[20:21]
	ds_read_b128 v[20:23], v238 offset:19200
	ds_write_b128 v238, v[44:47] offset:15744
	global_load_dwordx4 v[44:47], v[38:39], off offset:768
	s_waitcnt vmcnt(0) lgkmcnt(1)
	v_mul_f64 v[36:37], v[22:23], v[46:47]
	v_fma_f64 v[48:49], v[20:21], v[44:45], -v[36:37]
	v_mul_f64 v[20:21], v[20:21], v[46:47]
	v_fma_f64 v[50:51], v[22:23], v[44:45], v[20:21]
	global_load_dwordx4 v[44:47], v[24:25], off offset:128
	ds_read_b128 v[20:23], v238 offset:22656
	ds_write_b128 v238, v[48:51] offset:19200
	s_waitcnt vmcnt(0) lgkmcnt(1)
	v_mul_f64 v[36:37], v[22:23], v[46:47]
	v_fma_f64 v[48:49], v[20:21], v[44:45], -v[36:37]
	v_mul_f64 v[20:21], v[20:21], v[46:47]
	v_fma_f64 v[50:51], v[22:23], v[44:45], v[20:21]
	global_load_dwordx4 v[44:47], v[52:53], off offset:1536
	ds_read_b128 v[20:23], v238 offset:26112
	ds_write_b128 v238, v[48:51] offset:22656
	s_waitcnt vmcnt(0) lgkmcnt(1)
	v_mul_f64 v[36:37], v[22:23], v[46:47]
	v_fma_f64 v[48:49], v[20:21], v[44:45], -v[36:37]
	v_mul_f64 v[20:21], v[20:21], v[46:47]
	v_add_co_u32 v36, s0, 0x7000, v42
	v_add_co_ci_u32_e64 v37, s0, 0, v43, s0
	v_add_co_u32 v42, s0, 0x8000, v42
	v_add_co_ci_u32_e64 v43, s0, 0, v43, s0
	v_fma_f64 v[50:51], v[22:23], v[44:45], v[20:21]
	global_load_dwordx4 v[44:47], v[36:37], off offset:896
	ds_read_b128 v[20:23], v238 offset:29568
	ds_write_b128 v238, v[48:51] offset:26112
	s_waitcnt vmcnt(0) lgkmcnt(1)
	v_mul_f64 v[48:49], v[22:23], v[46:47]
	v_fma_f64 v[48:49], v[20:21], v[44:45], -v[48:49]
	v_mul_f64 v[20:21], v[20:21], v[46:47]
	v_fma_f64 v[50:51], v[22:23], v[44:45], v[20:21]
	global_load_dwordx4 v[44:47], v[42:43], off offset:256
	ds_read_b128 v[20:23], v238 offset:33024
	ds_write_b128 v238, v[48:51] offset:29568
	s_waitcnt vmcnt(0) lgkmcnt(1)
	v_mul_f64 v[48:49], v[22:23], v[46:47]
	v_fma_f64 v[48:49], v[20:21], v[44:45], -v[48:49]
	v_mul_f64 v[20:21], v[20:21], v[46:47]
	v_fma_f64 v[50:51], v[22:23], v[44:45], v[20:21]
	ds_write_b128 v238, v[48:51] offset:33024
	s_and_saveexec_b32 s0, vcc_lo
	s_cbranch_execz .LBB0_9
; %bb.8:
	global_load_dwordx4 v[44:47], v[32:33], off offset:832
	ds_read_b128 v[20:23], v238 offset:2880
	s_waitcnt vmcnt(0) lgkmcnt(0)
	v_mul_f64 v[32:33], v[22:23], v[46:47]
	v_fma_f64 v[48:49], v[20:21], v[44:45], -v[32:33]
	global_load_dwordx4 v[30:33], v[30:31], off offset:192
	v_mul_f64 v[20:21], v[20:21], v[46:47]
	v_fma_f64 v[50:51], v[22:23], v[44:45], v[20:21]
	ds_read_b128 v[20:23], v238 offset:6336
	ds_write_b128 v238, v[48:51] offset:2880
	s_waitcnt vmcnt(0) lgkmcnt(1)
	v_mul_f64 v[44:45], v[22:23], v[32:33]
	v_fma_f64 v[44:45], v[20:21], v[30:31], -v[44:45]
	v_mul_f64 v[20:21], v[20:21], v[32:33]
	v_fma_f64 v[46:47], v[22:23], v[30:31], v[20:21]
	global_load_dwordx4 v[30:33], v[40:41], off offset:1600
	ds_read_b128 v[20:23], v238 offset:9792
	ds_write_b128 v238, v[44:47] offset:6336
	s_waitcnt vmcnt(0) lgkmcnt(1)
	v_mul_f64 v[40:41], v[22:23], v[32:33]
	v_fma_f64 v[44:45], v[20:21], v[30:31], -v[40:41]
	v_mul_f64 v[20:21], v[20:21], v[32:33]
	v_fma_f64 v[46:47], v[22:23], v[30:31], v[20:21]
	global_load_dwordx4 v[28:31], v[28:29], off offset:960
	;; [unrolled: 8-line block ×8, first 2 shown]
	ds_read_b128 v[20:23], v238 offset:33984
	ds_write_b128 v238, v[28:31] offset:30528
	s_waitcnt vmcnt(0) lgkmcnt(1)
	v_mul_f64 v[28:29], v[22:23], v[26:27]
	v_fma_f64 v[28:29], v[20:21], v[24:25], -v[28:29]
	v_mul_f64 v[20:21], v[20:21], v[26:27]
	v_fma_f64 v[30:31], v[22:23], v[24:25], v[20:21]
	ds_write_b128 v238, v[28:31] offset:33984
.LBB0_9:
	s_or_b32 exec_lo, exec_lo, s0
	s_waitcnt lgkmcnt(0)
	s_barrier
	buffer_gl0_inv
	ds_read_b128 v[64:67], v238 offset:3456
	ds_read_b128 v[104:107], v238 offset:4416
	;; [unrolled: 1-line block ×28, first 2 shown]
	ds_read_b128 v[84:87], v238
	ds_read_b128 v[20:23], v238 offset:33024
	s_and_saveexec_b32 s0, vcc_lo
	s_cbranch_execz .LBB0_11
; %bb.10:
	ds_read_b128 v[220:223], v238 offset:6336
	ds_read_b128 v[224:227], v238 offset:9792
	ds_read_b128 v[232:235], v238 offset:13248
	ds_read_b128 v[240:243], v238 offset:16704
	ds_read_b128 v[228:231], v238 offset:20160
	ds_read_b128 v[128:131], v238 offset:23616
	s_waitcnt lgkmcnt(0)
	buffer_store_dword v128, off, s[24:27], 0 offset:36 ; 4-byte Folded Spill
	buffer_store_dword v129, off, s[24:27], 0 offset:40 ; 4-byte Folded Spill
	buffer_store_dword v130, off, s[24:27], 0 offset:44 ; 4-byte Folded Spill
	buffer_store_dword v131, off, s[24:27], 0 offset:48 ; 4-byte Folded Spill
	ds_read_b128 v[128:131], v238 offset:27072
	s_waitcnt lgkmcnt(0)
	buffer_store_dword v128, off, s[24:27], 0 offset:20 ; 4-byte Folded Spill
	buffer_store_dword v129, off, s[24:27], 0 offset:24 ; 4-byte Folded Spill
	buffer_store_dword v130, off, s[24:27], 0 offset:28 ; 4-byte Folded Spill
	buffer_store_dword v131, off, s[24:27], 0 offset:32 ; 4-byte Folded Spill
	ds_read_b128 v[128:131], v238 offset:30528
	;; [unrolled: 6-line block ×3, first 2 shown]
	ds_read_b128 v[128:131], v238 offset:33984
	s_waitcnt lgkmcnt(0)
	buffer_store_dword v128, off, s[24:27], 0 offset:4 ; 4-byte Folded Spill
	buffer_store_dword v129, off, s[24:27], 0 offset:8 ; 4-byte Folded Spill
	;; [unrolled: 1-line block ×4, first 2 shown]
.LBB0_11:
	s_or_b32 exec_lo, exec_lo, s0
	s_waitcnt lgkmcnt(9)
	v_add_f64 v[130:131], v[72:73], v[76:77]
	s_waitcnt lgkmcnt(5)
	v_add_f64 v[136:137], v[70:71], -v[82:83]
	s_mov_b32 s0, 0x134454ff
	s_mov_b32 s1, 0xbfee6f0e
	;; [unrolled: 1-line block ×4, first 2 shown]
	v_add_f64 v[138:139], v[74:75], -v[78:79]
	v_add_f64 v[134:135], v[68:69], -v[72:73]
	;; [unrolled: 1-line block ×3, first 2 shown]
	s_mov_b32 s2, 0x4755a5e
	s_mov_b32 s3, 0xbfe2cf23
	;; [unrolled: 1-line block ×6, first 2 shown]
	s_waitcnt lgkmcnt(1)
	v_add_f64 v[128:129], v[84:85], v[68:69]
	v_add_f64 v[142:143], v[76:77], -v[80:81]
	s_mov_b32 s19, 0xbfd3c6ef
	s_mov_b32 s18, s4
	;; [unrolled: 1-line block ×5, first 2 shown]
	v_fma_f64 v[132:133], v[130:131], -0.5, v[84:85]
	s_mov_b32 s20, s16
	s_waitcnt lgkmcnt(0)
	s_waitcnt_vscnt null, 0x0
	s_barrier
	buffer_gl0_inv
	v_add_f64 v[134:135], v[134:135], v[140:141]
	v_add_f64 v[140:141], v[72:73], -v[68:69]
	v_add_f64 v[128:129], v[128:129], v[72:73]
	v_add_f64 v[72:73], v[72:73], -v[76:77]
	v_fma_f64 v[130:131], v[136:137], s[0:1], v[132:133]
	v_fma_f64 v[132:133], v[136:137], s[12:13], v[132:133]
	v_add_f64 v[140:141], v[140:141], v[142:143]
	v_add_f64 v[128:129], v[128:129], v[76:77]
	v_fma_f64 v[130:131], v[138:139], s[2:3], v[130:131]
	v_fma_f64 v[132:133], v[138:139], s[14:15], v[132:133]
	v_add_f64 v[128:129], v[128:129], v[80:81]
	v_fma_f64 v[130:131], v[134:135], s[4:5], v[130:131]
	v_fma_f64 v[132:133], v[134:135], s[4:5], v[132:133]
	v_add_f64 v[134:135], v[68:69], v[80:81]
	v_add_f64 v[68:69], v[68:69], -v[80:81]
	v_fma_f64 v[84:85], v[134:135], -0.5, v[84:85]
	v_fma_f64 v[134:135], v[138:139], s[12:13], v[84:85]
	v_fma_f64 v[84:85], v[138:139], s[0:1], v[84:85]
	;; [unrolled: 1-line block ×6, first 2 shown]
	v_add_f64 v[84:85], v[86:87], v[70:71]
	v_add_f64 v[140:141], v[82:83], -v[78:79]
	v_add_f64 v[84:85], v[84:85], v[74:75]
	v_add_f64 v[84:85], v[84:85], v[78:79]
	v_add_f64 v[138:139], v[84:85], v[82:83]
	v_add_f64 v[84:85], v[74:75], v[78:79]
	v_fma_f64 v[84:85], v[84:85], -0.5, v[86:87]
	v_fma_f64 v[80:81], v[68:69], s[12:13], v[84:85]
	v_fma_f64 v[76:77], v[72:73], s[14:15], v[80:81]
	v_add_f64 v[80:81], v[70:71], -v[74:75]
	v_add_f64 v[80:81], v[80:81], v[140:141]
	v_fma_f64 v[140:141], v[80:81], s[4:5], v[76:77]
	v_fma_f64 v[76:77], v[68:69], s[0:1], v[84:85]
	v_add_f64 v[84:85], v[52:53], -v[60:61]
	v_fma_f64 v[76:77], v[72:73], s[2:3], v[76:77]
	v_fma_f64 v[142:143], v[80:81], s[4:5], v[76:77]
	v_add_f64 v[76:77], v[70:71], v[82:83]
	v_add_f64 v[70:71], v[74:75], -v[70:71]
	v_add_f64 v[74:75], v[78:79], -v[82:83]
	;; [unrolled: 1-line block ×4, first 2 shown]
	v_fma_f64 v[76:77], v[76:77], -0.5, v[86:87]
	v_add_f64 v[74:75], v[70:71], v[74:75]
	v_fma_f64 v[80:81], v[72:73], s[0:1], v[76:77]
	v_fma_f64 v[72:73], v[72:73], s[12:13], v[76:77]
	;; [unrolled: 1-line block ×4, first 2 shown]
	v_add_f64 v[72:73], v[56:57], v[52:53]
	v_fma_f64 v[70:71], v[74:75], s[4:5], v[80:81]
	v_fma_f64 v[144:145], v[74:75], s[4:5], v[68:69]
	v_fma_f64 v[72:73], v[72:73], -0.5, v[64:65]
	v_add_f64 v[74:75], v[50:51], -v[62:63]
	v_add_f64 v[80:81], v[48:49], -v[56:57]
	v_add_f64 v[68:69], v[64:65], v[48:49]
	v_fma_f64 v[76:77], v[74:75], s[0:1], v[72:73]
	v_fma_f64 v[72:73], v[74:75], s[12:13], v[72:73]
	v_add_f64 v[80:81], v[80:81], v[82:83]
	v_add_f64 v[68:69], v[68:69], v[56:57]
	v_fma_f64 v[76:77], v[78:79], s[2:3], v[76:77]
	v_fma_f64 v[72:73], v[78:79], s[14:15], v[72:73]
	v_add_f64 v[68:69], v[68:69], v[52:53]
	v_add_f64 v[52:53], v[56:57], -v[52:53]
	v_fma_f64 v[82:83], v[80:81], s[4:5], v[76:77]
	v_fma_f64 v[80:81], v[80:81], s[4:5], v[72:73]
	v_add_f64 v[72:73], v[48:49], v[60:61]
	v_add_f64 v[76:77], v[56:57], -v[48:49]
	v_add_f64 v[48:49], v[48:49], -v[60:61]
	v_add_f64 v[68:69], v[68:69], v[60:61]
	v_fma_f64 v[64:65], v[72:73], -0.5, v[64:65]
	v_add_f64 v[76:77], v[76:77], v[84:85]
	v_fma_f64 v[72:73], v[78:79], s[12:13], v[64:65]
	v_fma_f64 v[64:65], v[78:79], s[0:1], v[64:65]
	;; [unrolled: 1-line block ×6, first 2 shown]
	v_add_f64 v[64:65], v[66:67], v[50:51]
	v_add_f64 v[72:73], v[62:63], -v[54:55]
	v_add_f64 v[76:77], v[128:129], v[68:69]
	v_add_f64 v[64:65], v[64:65], v[58:59]
	;; [unrolled: 1-line block ×5, first 2 shown]
	v_add_f64 v[54:55], v[54:55], -v[62:63]
	v_add_f64 v[78:79], v[138:139], v[146:147]
	v_fma_f64 v[64:65], v[64:65], -0.5, v[66:67]
	v_fma_f64 v[60:61], v[48:49], s[12:13], v[64:65]
	v_fma_f64 v[56:57], v[52:53], s[14:15], v[60:61]
	v_add_f64 v[60:61], v[50:51], -v[58:59]
	v_add_f64 v[60:61], v[60:61], v[72:73]
	v_fma_f64 v[74:75], v[60:61], s[4:5], v[56:57]
	v_fma_f64 v[56:57], v[48:49], s[0:1], v[64:65]
	;; [unrolled: 1-line block ×4, first 2 shown]
	v_add_f64 v[56:57], v[50:51], v[62:63]
	v_add_f64 v[50:51], v[58:59], -v[50:51]
	v_mul_f64 v[58:59], v[82:83], s[14:15]
	v_fma_f64 v[56:57], v[56:57], -0.5, v[66:67]
	v_add_f64 v[50:51], v[50:51], v[54:55]
	v_fma_f64 v[60:61], v[52:53], s[0:1], v[56:57]
	v_fma_f64 v[52:53], v[52:53], s[12:13], v[56:57]
	;; [unrolled: 1-line block ×6, first 2 shown]
	v_mul_f64 v[50:51], v[74:75], s[2:3]
	v_mul_f64 v[52:53], v[54:55], s[0:1]
	;; [unrolled: 1-line block ×4, first 2 shown]
	v_fma_f64 v[50:51], v[82:83], s[16:17], v[50:51]
	v_mul_f64 v[54:55], v[54:55], s[4:5]
	v_fma_f64 v[82:83], v[74:75], s[16:17], v[58:59]
	v_fma_f64 v[52:53], v[84:85], s[4:5], v[52:53]
	;; [unrolled: 1-line block ×3, first 2 shown]
	v_mul_f64 v[56:57], v[152:153], s[2:3]
	v_fma_f64 v[158:159], v[86:87], s[12:13], v[48:49]
	v_mul_f64 v[48:49], v[152:153], s[20:21]
	v_add_f64 v[72:73], v[130:131], v[50:51]
	v_fma_f64 v[54:55], v[84:85], s[12:13], v[54:55]
	v_add_f64 v[84:85], v[128:129], -v[68:69]
	v_add_f64 v[74:75], v[140:141], v[82:83]
	v_add_f64 v[86:87], v[138:139], -v[146:147]
	v_add_f64 v[82:83], v[140:141], -v[82:83]
	;; [unrolled: 1-line block ×4, first 2 shown]
	v_add_f64 v[128:129], v[108:109], v[112:113]
	v_add_f64 v[64:65], v[134:135], v[52:53]
	;; [unrolled: 1-line block ×3, first 2 shown]
	v_fma_f64 v[156:157], v[80:81], s[20:21], v[56:57]
	v_add_f64 v[68:69], v[134:135], -v[52:53]
	v_fma_f64 v[152:153], v[80:81], s[14:15], v[48:49]
	v_add_f64 v[80:81], v[130:131], -v[50:51]
	v_add_f64 v[130:131], v[116:117], v[120:121]
	v_add_f64 v[52:53], v[136:137], -v[154:155]
	v_add_f64 v[136:137], v[114:115], -v[126:127]
	;; [unrolled: 1-line block ×3, first 2 shown]
	v_add_f64 v[66:67], v[70:71], v[54:55]
	v_add_f64 v[62:63], v[144:145], v[158:159]
	v_add_f64 v[70:71], v[70:71], -v[54:55]
	v_add_f64 v[128:129], v[128:129], v[116:117]
	v_add_f64 v[54:55], v[144:145], -v[158:159]
	;; [unrolled: 2-line block ×4, first 2 shown]
	v_fma_f64 v[132:133], v[130:131], -0.5, v[108:109]
	v_add_f64 v[142:143], v[120:121], -v[124:125]
	v_add_f64 v[134:135], v[134:135], v[140:141]
	v_add_f64 v[140:141], v[116:117], -v[112:113]
	v_add_f64 v[116:117], v[116:117], -v[120:121]
	v_add_f64 v[128:129], v[128:129], v[120:121]
	v_fma_f64 v[130:131], v[136:137], s[0:1], v[132:133]
	v_fma_f64 v[132:133], v[136:137], s[12:13], v[132:133]
	v_add_f64 v[140:141], v[140:141], v[142:143]
	v_add_f64 v[128:129], v[128:129], v[124:125]
	v_fma_f64 v[130:131], v[138:139], s[2:3], v[130:131]
	v_fma_f64 v[132:133], v[138:139], s[14:15], v[132:133]
	;; [unrolled: 1-line block ×4, first 2 shown]
	v_add_f64 v[134:135], v[112:113], v[124:125]
	v_add_f64 v[112:113], v[112:113], -v[124:125]
	v_fma_f64 v[108:109], v[134:135], -0.5, v[108:109]
	v_fma_f64 v[134:135], v[138:139], s[12:13], v[108:109]
	v_fma_f64 v[108:109], v[138:139], s[0:1], v[108:109]
	;; [unrolled: 1-line block ×6, first 2 shown]
	v_add_f64 v[108:109], v[110:111], v[114:115]
	v_add_f64 v[140:141], v[126:127], -v[122:123]
	v_add_f64 v[108:109], v[108:109], v[118:119]
	v_add_f64 v[108:109], v[108:109], v[122:123]
	;; [unrolled: 1-line block ×4, first 2 shown]
	v_fma_f64 v[108:109], v[108:109], -0.5, v[110:111]
	v_fma_f64 v[124:125], v[112:113], s[12:13], v[108:109]
	v_fma_f64 v[108:109], v[112:113], s[0:1], v[108:109]
	;; [unrolled: 1-line block ×3, first 2 shown]
	v_add_f64 v[124:125], v[114:115], -v[118:119]
	v_fma_f64 v[108:109], v[116:117], s[2:3], v[108:109]
	v_add_f64 v[124:125], v[124:125], v[140:141]
	v_fma_f64 v[142:143], v[124:125], s[4:5], v[108:109]
	v_add_f64 v[108:109], v[114:115], v[126:127]
	v_add_f64 v[114:115], v[118:119], -v[114:115]
	v_add_f64 v[118:119], v[122:123], -v[126:127]
	v_fma_f64 v[140:141], v[124:125], s[4:5], v[120:121]
	v_add_f64 v[120:121], v[100:101], -v[96:97]
	v_fma_f64 v[108:109], v[108:109], -0.5, v[110:111]
	v_add_f64 v[114:115], v[114:115], v[118:119]
	v_add_f64 v[118:119], v[88:89], -v[92:93]
	v_fma_f64 v[110:111], v[116:117], s[0:1], v[108:109]
	v_fma_f64 v[108:109], v[116:117], s[12:13], v[108:109]
	v_add_f64 v[116:117], v[94:95], -v[98:99]
	v_add_f64 v[118:119], v[118:119], v[120:121]
	v_add_f64 v[120:121], v[96:97], -v[100:101]
	v_fma_f64 v[110:111], v[112:113], s[14:15], v[110:111]
	v_fma_f64 v[108:109], v[112:113], s[2:3], v[108:109]
	;; [unrolled: 1-line block ×4, first 2 shown]
	v_add_f64 v[108:109], v[104:105], v[88:89]
	v_add_f64 v[110:111], v[90:91], -v[102:103]
	v_add_f64 v[108:109], v[108:109], v[92:93]
	v_add_f64 v[108:109], v[108:109], v[96:97]
	;; [unrolled: 1-line block ×4, first 2 shown]
	v_fma_f64 v[108:109], v[108:109], -0.5, v[104:105]
	v_fma_f64 v[114:115], v[110:111], s[0:1], v[108:109]
	v_fma_f64 v[108:109], v[110:111], s[12:13], v[108:109]
	;; [unrolled: 1-line block ×6, first 2 shown]
	v_add_f64 v[108:109], v[88:89], v[100:101]
	v_add_f64 v[118:119], v[92:93], -v[88:89]
	v_add_f64 v[88:89], v[88:89], -v[100:101]
	;; [unrolled: 1-line block ×3, first 2 shown]
	v_fma_f64 v[104:105], v[108:109], -0.5, v[104:105]
	v_add_f64 v[118:119], v[118:119], v[120:121]
	v_add_f64 v[120:121], v[128:129], v[112:113]
	v_fma_f64 v[108:109], v[116:117], s[12:13], v[104:105]
	v_fma_f64 v[104:105], v[116:117], s[0:1], v[104:105]
	;; [unrolled: 1-line block ×6, first 2 shown]
	v_add_f64 v[104:105], v[106:107], v[90:91]
	v_add_f64 v[108:109], v[102:103], -v[98:99]
	v_add_f64 v[104:105], v[104:105], v[94:95]
	v_add_f64 v[104:105], v[104:105], v[98:99]
	;; [unrolled: 1-line block ×5, first 2 shown]
	v_fma_f64 v[104:105], v[104:105], -0.5, v[106:107]
	v_fma_f64 v[100:101], v[88:89], s[12:13], v[104:105]
	v_fma_f64 v[96:97], v[92:93], s[14:15], v[100:101]
	v_add_f64 v[100:101], v[90:91], -v[94:95]
	v_add_f64 v[100:101], v[100:101], v[108:109]
	v_fma_f64 v[110:111], v[100:101], s[4:5], v[96:97]
	v_fma_f64 v[96:97], v[88:89], s[0:1], v[104:105]
	;; [unrolled: 1-line block ×4, first 2 shown]
	v_add_f64 v[96:97], v[90:91], v[102:103]
	v_add_f64 v[90:91], v[94:95], -v[90:91]
	v_add_f64 v[94:95], v[98:99], -v[102:103]
	v_mul_f64 v[98:99], v[114:115], s[14:15]
	v_fma_f64 v[96:97], v[96:97], -0.5, v[106:107]
	v_add_f64 v[90:91], v[90:91], v[94:95]
	v_fma_f64 v[104:105], v[92:93], s[0:1], v[96:97]
	v_fma_f64 v[92:93], v[92:93], s[12:13], v[96:97]
	;; [unrolled: 1-line block ×6, first 2 shown]
	v_mul_f64 v[90:91], v[110:111], s[2:3]
	v_mul_f64 v[92:93], v[94:95], s[0:1]
	;; [unrolled: 1-line block ×4, first 2 shown]
	v_fma_f64 v[90:91], v[114:115], s[16:17], v[90:91]
	v_fma_f64 v[114:115], v[110:111], s[16:17], v[98:99]
	v_mul_f64 v[94:95], v[94:95], s[4:5]
	v_fma_f64 v[92:93], v[126:127], s[4:5], v[92:93]
	v_fma_f64 v[102:103], v[152:153], s[18:19], v[96:97]
	v_mul_f64 v[96:97], v[100:101], s[2:3]
	v_fma_f64 v[152:153], v[152:153], s[12:13], v[88:89]
	v_mul_f64 v[88:89], v[100:101], s[20:21]
	v_add_f64 v[116:117], v[130:131], v[90:91]
	v_add_f64 v[118:119], v[140:141], v[114:115]
	v_fma_f64 v[94:95], v[126:127], s[12:13], v[94:95]
	v_add_f64 v[126:127], v[138:139], -v[154:155]
	v_add_f64 v[114:115], v[140:141], -v[114:115]
	;; [unrolled: 1-line block ×4, first 2 shown]
	v_add_f64 v[108:109], v[134:135], v[92:93]
	v_add_f64 v[104:105], v[136:137], v[102:103]
	v_fma_f64 v[156:157], v[124:125], s[20:21], v[96:97]
	v_add_f64 v[100:101], v[134:135], -v[92:93]
	v_fma_f64 v[158:159], v[124:125], s[14:15], v[88:89]
	v_add_f64 v[124:125], v[128:129], -v[112:113]
	v_add_f64 v[112:113], v[130:131], -v[90:91]
	v_add_f64 v[130:131], v[36:37], v[40:41]
	v_add_f64 v[92:93], v[136:137], -v[102:103]
	v_add_f64 v[136:137], v[34:35], -v[46:47]
	;; [unrolled: 1-line block ×3, first 2 shown]
	v_add_f64 v[128:129], v[28:29], v[32:33]
	v_add_f64 v[110:111], v[144:145], v[94:95]
	v_add_f64 v[106:107], v[146:147], v[152:153]
	v_add_f64 v[102:103], v[144:145], -v[94:95]
	v_add_f64 v[94:95], v[146:147], -v[152:153]
	;; [unrolled: 1-line block ×4, first 2 shown]
	v_add_f64 v[96:97], v[132:133], v[156:157]
	v_add_f64 v[88:89], v[132:133], -v[156:157]
	v_add_f64 v[98:99], v[142:143], v[158:159]
	v_add_f64 v[90:91], v[142:143], -v[158:159]
	v_add_f64 v[142:143], v[40:41], -v[44:45]
	v_fma_f64 v[130:131], v[130:131], -0.5, v[28:29]
	v_add_f64 v[134:135], v[134:135], v[140:141]
	v_add_f64 v[128:129], v[128:129], v[36:37]
	v_add_f64 v[140:141], v[36:37], -v[32:33]
	v_add_f64 v[144:145], v[144:145], v[146:147]
	v_fma_f64 v[132:133], v[136:137], s[0:1], v[130:131]
	v_fma_f64 v[130:131], v[136:137], s[12:13], v[130:131]
	v_add_f64 v[128:129], v[128:129], v[40:41]
	v_add_f64 v[140:141], v[140:141], v[142:143]
	v_add_f64 v[40:41], v[36:37], -v[40:41]
	v_add_f64 v[36:37], v[34:35], -v[38:39]
	;; [unrolled: 1-line block ×3, first 2 shown]
	v_fma_f64 v[132:133], v[138:139], s[2:3], v[132:133]
	v_fma_f64 v[130:131], v[138:139], s[14:15], v[130:131]
	v_add_f64 v[128:129], v[128:129], v[44:45]
	v_fma_f64 v[132:133], v[134:135], s[4:5], v[132:133]
	v_fma_f64 v[130:131], v[134:135], s[4:5], v[130:131]
	v_add_f64 v[134:135], v[32:33], v[44:45]
	v_add_f64 v[44:45], v[32:33], -v[44:45]
	v_fma_f64 v[28:29], v[134:135], -0.5, v[28:29]
	v_fma_f64 v[134:135], v[138:139], s[12:13], v[28:29]
	v_fma_f64 v[28:29], v[138:139], s[0:1], v[28:29]
	v_add_f64 v[138:139], v[38:39], v[42:43]
	v_fma_f64 v[134:135], v[136:137], s[2:3], v[134:135]
	v_fma_f64 v[28:29], v[136:137], s[14:15], v[28:29]
	v_fma_f64 v[138:139], v[138:139], -0.5, v[30:31]
	v_fma_f64 v[134:135], v[140:141], s[4:5], v[134:135]
	v_fma_f64 v[136:137], v[140:141], s[4:5], v[28:29]
	v_fma_f64 v[32:33], v[44:45], s[12:13], v[138:139]
	v_add_f64 v[140:141], v[46:47], -v[42:43]
	v_add_f64 v[28:29], v[30:31], v[34:35]
	v_fma_f64 v[32:33], v[40:41], s[14:15], v[32:33]
	v_add_f64 v[140:141], v[36:37], v[140:141]
	v_add_f64 v[28:29], v[28:29], v[38:39]
	v_fma_f64 v[36:37], v[140:141], s[4:5], v[32:33]
	v_fma_f64 v[32:33], v[44:45], s[0:1], v[138:139]
	v_add_f64 v[138:139], v[34:35], v[46:47]
	v_add_f64 v[34:35], v[38:39], -v[34:35]
	v_add_f64 v[38:39], v[42:43], -v[46:47]
	v_add_f64 v[28:29], v[28:29], v[42:43]
	v_add_f64 v[42:43], v[246:247], -v[22:23]
	v_fma_f64 v[32:33], v[40:41], s[2:3], v[32:33]
	v_fma_f64 v[138:139], v[138:139], -0.5, v[30:31]
	v_add_f64 v[34:35], v[34:35], v[38:39]
	v_add_f64 v[28:29], v[28:29], v[46:47]
	v_add_f64 v[46:47], v[244:245], -v[248:249]
	v_fma_f64 v[32:33], v[140:141], s[4:5], v[32:33]
	v_fma_f64 v[30:31], v[40:41], s[0:1], v[138:139]
	;; [unrolled: 1-line block ×3, first 2 shown]
	v_add_f64 v[40:41], v[248:249], v[252:253]
	v_add_f64 v[138:139], v[250:251], -v[254:255]
	v_add_f64 v[140:141], v[20:21], -v[252:253]
	v_fma_f64 v[30:31], v[44:45], s[14:15], v[30:31]
	v_fma_f64 v[38:39], v[44:45], s[2:3], v[38:39]
	v_fma_f64 v[40:41], v[40:41], -0.5, v[24:25]
	v_add_f64 v[140:141], v[46:47], v[140:141]
	v_fma_f64 v[30:31], v[34:35], s[4:5], v[30:31]
	v_fma_f64 v[34:35], v[34:35], s[4:5], v[38:39]
	;; [unrolled: 1-line block ×3, first 2 shown]
	v_add_f64 v[38:39], v[24:25], v[244:245]
	v_fma_f64 v[40:41], v[42:43], s[12:13], v[40:41]
	v_fma_f64 v[44:45], v[138:139], s[2:3], v[44:45]
	v_add_f64 v[38:39], v[38:39], v[248:249]
	v_fma_f64 v[40:41], v[138:139], s[14:15], v[40:41]
	v_fma_f64 v[46:47], v[140:141], s[4:5], v[44:45]
	v_add_f64 v[44:45], v[244:245], v[20:21]
	v_add_f64 v[38:39], v[38:39], v[252:253]
	v_fma_f64 v[40:41], v[140:141], s[4:5], v[40:41]
	v_add_f64 v[140:141], v[248:249], -v[244:245]
	v_fma_f64 v[24:25], v[44:45], -0.5, v[24:25]
	v_add_f64 v[38:39], v[38:39], v[20:21]
	v_add_f64 v[20:21], v[244:245], -v[20:21]
	v_add_f64 v[140:141], v[140:141], v[142:143]
	v_add_f64 v[142:143], v[248:249], -v[252:253]
	v_fma_f64 v[44:45], v[138:139], s[12:13], v[24:25]
	v_fma_f64 v[24:25], v[138:139], s[0:1], v[24:25]
	v_add_f64 v[138:139], v[250:251], v[254:255]
	v_fma_f64 v[44:45], v[42:43], s[2:3], v[44:45]
	v_fma_f64 v[24:25], v[42:43], s[14:15], v[24:25]
	v_fma_f64 v[138:139], v[138:139], -0.5, v[26:27]
	v_fma_f64 v[44:45], v[140:141], s[4:5], v[44:45]
	v_fma_f64 v[42:43], v[140:141], s[4:5], v[24:25]
	;; [unrolled: 1-line block ×4, first 2 shown]
	v_add_f64 v[24:25], v[26:27], v[246:247]
	v_fma_f64 v[140:141], v[142:143], s[14:15], v[140:141]
	v_fma_f64 v[138:139], v[142:143], s[2:3], v[138:139]
	v_add_f64 v[24:25], v[24:25], v[250:251]
	v_fma_f64 v[140:141], v[144:145], s[4:5], v[140:141]
	v_fma_f64 v[146:147], v[144:145], s[4:5], v[138:139]
	v_add_f64 v[138:139], v[246:247], v[22:23]
	v_add_f64 v[24:25], v[24:25], v[254:255]
	v_add_f64 v[144:145], v[250:251], -v[246:247]
	v_fma_f64 v[26:27], v[138:139], -0.5, v[26:27]
	v_add_f64 v[24:25], v[24:25], v[22:23]
	v_add_f64 v[22:23], v[254:255], -v[22:23]
	v_fma_f64 v[138:139], v[142:143], s[0:1], v[26:27]
	v_fma_f64 v[26:27], v[142:143], s[12:13], v[26:27]
	v_add_f64 v[22:23], v[144:145], v[22:23]
	v_fma_f64 v[138:139], v[20:21], s[14:15], v[138:139]
	v_fma_f64 v[20:21], v[20:21], s[2:3], v[26:27]
	;; [unrolled: 1-line block ×4, first 2 shown]
	v_mul_f64 v[22:23], v[140:141], s[2:3]
	v_add_f64 v[20:21], v[128:129], v[38:39]
	v_fma_f64 v[160:161], v[46:47], s[16:17], v[22:23]
	v_mul_f64 v[22:23], v[144:145], s[0:1]
	v_mul_f64 v[46:47], v[46:47], s[14:15]
	;; [unrolled: 1-line block ×3, first 2 shown]
	v_add_f64 v[138:139], v[132:133], v[160:161]
	v_fma_f64 v[162:163], v[44:45], s[4:5], v[22:23]
	v_mul_f64 v[22:23], v[26:27], s[0:1]
	v_mul_f64 v[26:27], v[26:27], s[18:19]
	v_fma_f64 v[46:47], v[140:141], s[16:17], v[46:47]
	v_fma_f64 v[44:45], v[44:45], s[12:13], v[144:145]
	v_add_f64 v[142:143], v[134:135], v[162:163]
	v_fma_f64 v[164:165], v[42:43], s[18:19], v[22:23]
	v_mul_f64 v[22:23], v[146:147], s[2:3]
	v_fma_f64 v[168:169], v[42:43], s[12:13], v[26:27]
	v_mul_f64 v[26:27], v[146:147], s[20:21]
	v_add_f64 v[140:141], v[36:37], v[46:47]
	v_add_f64 v[144:145], v[30:31], v[44:45]
	v_add_f64 v[42:43], v[134:135], -v[162:163]
	v_add_f64 v[44:45], v[30:31], -v[44:45]
	v_add_f64 v[152:153], v[136:137], v[164:165]
	v_fma_f64 v[166:167], v[40:41], s[20:21], v[22:23]
	v_add_f64 v[22:23], v[28:29], v[24:25]
	v_add_f64 v[28:29], v[28:29], -v[24:25]
	buffer_load_dword v24, off, s[24:27], 0 offset:648 ; 4-byte Folded Reload
	v_fma_f64 v[146:147], v[40:41], s[14:15], v[26:27]
	v_add_f64 v[154:155], v[34:35], v[168:169]
	v_add_f64 v[26:27], v[128:129], -v[38:39]
	v_add_f64 v[38:39], v[132:133], -v[160:161]
	;; [unrolled: 1-line block ×4, first 2 shown]
	s_waitcnt vmcnt(0)
	ds_write_b128 v24, v[76:79]
	ds_write_b128 v24, v[72:75] offset:16
	ds_write_b128 v24, v[64:67] offset:32
	;; [unrolled: 1-line block ×9, first 2 shown]
	buffer_load_dword v24, off, s[24:27], 0 offset:644 ; 4-byte Folded Reload
	v_add_f64 v[156:157], v[130:131], v[166:167]
	v_add_f64 v[158:159], v[32:33], v[146:147]
	v_add_f64 v[132:133], v[130:131], -v[166:167]
	v_add_f64 v[130:131], v[34:35], -v[168:169]
	;; [unrolled: 1-line block ×3, first 2 shown]
	s_waitcnt vmcnt(0)
	ds_write_b128 v24, v[120:123]
	ds_write_b128 v24, v[116:119] offset:16
	ds_write_b128 v24, v[108:111] offset:32
	;; [unrolled: 1-line block ×9, first 2 shown]
	ds_write_b128 v239, v[20:23]
	ds_write_b128 v239, v[138:141] offset:16
	ds_write_b128 v239, v[142:145] offset:32
	;; [unrolled: 1-line block ×9, first 2 shown]
	s_and_saveexec_b32 s22, vcc_lo
	s_cbranch_execz .LBB0_13
; %bb.12:
	s_clause 0xf
	buffer_load_dword v92, off, s[24:27], 0 offset:36
	buffer_load_dword v93, off, s[24:27], 0 offset:40
	buffer_load_dword v94, off, s[24:27], 0 offset:44
	buffer_load_dword v95, off, s[24:27], 0 offset:48
	buffer_load_dword v96, off, s[24:27], 0 offset:52
	buffer_load_dword v97, off, s[24:27], 0 offset:56
	buffer_load_dword v98, off, s[24:27], 0 offset:60
	buffer_load_dword v99, off, s[24:27], 0 offset:64
	buffer_load_dword v84, off, s[24:27], 0 offset:4
	buffer_load_dword v85, off, s[24:27], 0 offset:8
	buffer_load_dword v86, off, s[24:27], 0 offset:12
	buffer_load_dword v87, off, s[24:27], 0 offset:16
	buffer_load_dword v88, off, s[24:27], 0 offset:20
	buffer_load_dword v89, off, s[24:27], 0 offset:24
	buffer_load_dword v90, off, s[24:27], 0 offset:28
	buffer_load_dword v91, off, s[24:27], 0 offset:32
	v_add_f64 v[20:21], v[226:227], -v[242:243]
	s_waitcnt vmcnt(14)
	v_add_f64 v[32:33], v[240:241], -v[92:93]
	s_waitcnt vmcnt(4)
	v_add_f64 v[38:39], v[234:235], -v[86:87]
	v_add_f64 v[62:63], v[232:233], -v[84:85]
	;; [unrolled: 1-line block ×5, first 2 shown]
	s_waitcnt vmcnt(2)
	v_add_f64 v[26:27], v[84:85], -v[88:89]
	s_waitcnt vmcnt(0)
	v_add_f64 v[54:55], v[230:231], -v[90:91]
	v_add_f64 v[30:31], v[94:95], -v[98:99]
	;; [unrolled: 1-line block ×4, first 2 shown]
	v_add_f64 v[20:21], v[20:21], v[22:23]
	v_add_f64 v[22:23], v[242:243], v[94:95]
	v_fma_f64 v[24:25], v[22:23], -0.5, v[150:151]
	v_fma_f64 v[22:23], v[28:29], s[0:1], v[24:25]
	v_fma_f64 v[24:25], v[28:29], s[12:13], v[24:25]
	;; [unrolled: 1-line block ×5, first 2 shown]
	v_add_f64 v[22:23], v[232:233], -v[228:229]
	v_add_f64 v[34:35], v[22:23], v[26:27]
	v_add_f64 v[22:23], v[228:229], v[88:89]
	v_add_f64 v[26:27], v[86:87], -v[90:91]
	v_fma_f64 v[36:37], v[22:23], -0.5, v[220:221]
	v_fma_f64 v[22:23], v[38:39], s[12:13], v[36:37]
	v_fma_f64 v[22:23], v[54:55], s[14:15], v[22:23]
	v_fma_f64 v[56:57], v[34:35], s[4:5], v[22:23]
	v_add_f64 v[22:23], v[234:235], -v[230:231]
	v_add_f64 v[58:59], v[22:23], v[26:27]
	v_add_f64 v[26:27], v[242:243], -v[226:227]
	v_add_f64 v[22:23], v[230:231], v[90:91]
	v_add_f64 v[30:31], v[26:27], v[30:31]
	;; [unrolled: 1-line block ×3, first 2 shown]
	v_fma_f64 v[60:61], v[22:23], -0.5, v[222:223]
	v_fma_f64 v[48:49], v[26:27], -0.5, v[150:151]
	v_fma_f64 v[22:23], v[62:63], s[0:1], v[60:61]
	v_fma_f64 v[26:27], v[32:33], s[12:13], v[48:49]
	;; [unrolled: 1-line block ×7, first 2 shown]
	v_add_f64 v[28:29], v[92:93], -v[96:97]
	v_fma_f64 v[44:45], v[30:31], s[4:5], v[26:27]
	v_add_f64 v[26:27], v[228:229], -v[232:233]
	v_fma_f64 v[48:49], v[30:31], s[4:5], v[48:49]
	v_mul_f64 v[22:23], v[66:67], s[20:21]
	v_add_f64 v[50:51], v[26:27], v[46:47]
	v_add_f64 v[26:27], v[232:233], v[84:85]
	v_add_f64 v[46:47], v[90:91], -v[86:87]
	v_fma_f64 v[42:43], v[56:57], s[14:15], v[22:23]
	v_fma_f64 v[52:53], v[26:27], -0.5, v[220:221]
	v_add_f64 v[22:23], v[40:41], -v[42:43]
	v_add_f64 v[42:43], v[40:41], v[42:43]
	v_fma_f64 v[26:27], v[54:55], s[0:1], v[52:53]
	v_fma_f64 v[30:31], v[54:55], s[12:13], v[52:53]
	;; [unrolled: 1-line block ×10, first 2 shown]
	v_add_f64 v[26:27], v[230:231], -v[234:235]
	v_fma_f64 v[76:77], v[50:51], s[4:5], v[30:31]
	v_fma_f64 v[32:33], v[34:35], s[4:5], v[20:21]
	;; [unrolled: 1-line block ×3, first 2 shown]
	v_add_f64 v[24:25], v[96:97], -v[92:93]
	v_add_f64 v[70:71], v[26:27], v[46:47]
	v_add_f64 v[26:27], v[234:235], v[86:87]
	v_mul_f64 v[20:21], v[32:33], s[14:15]
	v_fma_f64 v[72:73], v[26:27], -0.5, v[222:223]
	v_fma_f64 v[54:55], v[36:37], s[16:17], v[20:21]
	v_add_f64 v[20:21], v[150:151], v[226:227]
	v_mul_f64 v[36:37], v[36:37], s[2:3]
	v_fma_f64 v[26:27], v[64:65], s[12:13], v[72:73]
	v_fma_f64 v[30:31], v[64:65], s[0:1], v[72:73]
	v_add_f64 v[20:21], v[20:21], v[242:243]
	v_add_f64 v[72:73], v[226:227], -v[98:99]
	v_add_f64 v[34:35], v[52:53], -v[54:55]
	v_add_f64 v[54:55], v[52:53], v[54:55]
	v_fma_f64 v[26:27], v[62:63], s[2:3], v[26:27]
	v_fma_f64 v[30:31], v[62:63], s[14:15], v[30:31]
	v_add_f64 v[20:21], v[20:21], v[94:95]
	v_fma_f64 v[74:75], v[70:71], s[4:5], v[26:27]
	v_fma_f64 v[70:71], v[70:71], s[4:5], v[30:31]
	v_add_f64 v[58:59], v[20:21], v[98:99]
	v_add_f64 v[20:21], v[222:223], v[234:235]
	v_mul_f64 v[26:27], v[74:75], s[18:19]
	v_mul_f64 v[30:31], v[70:71], s[4:5]
	v_add_f64 v[20:21], v[20:21], v[230:231]
	v_fma_f64 v[46:47], v[68:69], s[12:13], v[26:27]
	v_fma_f64 v[50:51], v[76:77], s[12:13], v[30:31]
	v_add_f64 v[20:21], v[20:21], v[90:91]
	v_add_f64 v[26:27], v[44:45], -v[46:47]
	v_add_f64 v[30:31], v[48:49], -v[50:51]
	v_add_f64 v[50:51], v[48:49], v[50:51]
	v_add_f64 v[60:61], v[20:21], v[86:87]
	v_add_f64 v[20:21], v[224:225], -v[240:241]
	v_add_f64 v[46:47], v[44:45], v[46:47]
	v_add_f64 v[38:39], v[58:59], -v[60:61]
	v_add_f64 v[58:59], v[58:59], v[60:61]
	buffer_load_dword v60, off, s[24:27], 0 offset:1860 ; 4-byte Folded Reload
	v_add_f64 v[62:63], v[20:21], v[24:25]
	v_add_f64 v[20:21], v[240:241], v[92:93]
	v_add_f64 v[24:25], v[240:241], -v[224:225]
	v_fma_f64 v[64:65], v[20:21], -0.5, v[148:149]
	v_add_f64 v[28:29], v[24:25], v[28:29]
	v_add_f64 v[24:25], v[224:225], v[96:97]
	v_fma_f64 v[20:21], v[72:73], s[12:13], v[64:65]
	v_fma_f64 v[64:65], v[72:73], s[0:1], v[64:65]
	;; [unrolled: 1-line block ×7, first 2 shown]
	v_add_f64 v[36:37], v[148:149], v[224:225]
	v_mul_f64 v[20:21], v[66:67], s[2:3]
	v_fma_f64 v[66:67], v[24:25], -0.5, v[148:149]
	v_add_f64 v[52:53], v[62:63], v[64:65]
	v_add_f64 v[36:37], v[36:37], v[240:241]
	v_fma_f64 v[56:57], v[56:57], s[20:21], v[20:21]
	v_fma_f64 v[24:25], v[78:79], s[0:1], v[66:67]
	;; [unrolled: 1-line block ×3, first 2 shown]
	v_add_f64 v[32:33], v[62:63], -v[64:65]
	v_add_f64 v[36:37], v[36:37], v[92:93]
	v_add_f64 v[20:21], v[80:81], -v[56:57]
	v_fma_f64 v[24:25], v[72:73], s[14:15], v[24:25]
	v_fma_f64 v[66:67], v[72:73], s[2:3], v[66:67]
	v_add_f64 v[40:41], v[80:81], v[56:57]
	v_add_f64 v[72:73], v[36:37], v[96:97]
	;; [unrolled: 1-line block ×3, first 2 shown]
	v_fma_f64 v[82:83], v[28:29], s[4:5], v[24:25]
	v_fma_f64 v[66:67], v[28:29], s[4:5], v[66:67]
	v_mul_f64 v[28:29], v[70:71], s[0:1]
	v_mul_f64 v[24:25], v[74:75], s[0:1]
	v_add_f64 v[36:37], v[36:37], v[228:229]
	v_fma_f64 v[70:71], v[76:77], s[4:5], v[28:29]
	v_fma_f64 v[68:69], v[68:69], s[18:19], v[24:25]
	v_add_f64 v[36:37], v[36:37], v[88:89]
	v_add_f64 v[48:49], v[66:67], v[70:71]
	;; [unrolled: 1-line block ×3, first 2 shown]
	v_add_f64 v[28:29], v[66:67], -v[70:71]
	v_add_f64 v[24:25], v[82:83], -v[68:69]
	v_add_f64 v[74:75], v[36:37], v[84:85]
	v_add_f64 v[56:57], v[72:73], v[74:75]
	v_add_f64 v[36:37], v[72:73], -v[74:75]
	s_waitcnt vmcnt(0)
	v_lshlrev_b32_e32 v60, 4, v60
	ds_write_b128 v60, v[56:59]
	ds_write_b128 v60, v[52:55] offset:16
	ds_write_b128 v60, v[48:51] offset:32
	;; [unrolled: 1-line block ×9, first 2 shown]
.LBB0_13:
	s_or_b32 exec_lo, exec_lo, s22
	s_waitcnt lgkmcnt(0)
	s_barrier
	buffer_gl0_inv
	ds_read_b128 v[20:23], v238 offset:5760
	s_clause 0x3
	buffer_load_dword v30, off, s[24:27], 0 offset:716
	buffer_load_dword v31, off, s[24:27], 0 offset:720
	;; [unrolled: 1-line block ×4, first 2 shown]
	s_mov_b32 s2, 0xe8584caa
	s_mov_b32 s3, 0xbfebb67a
	;; [unrolled: 1-line block ×4, first 2 shown]
	s_waitcnt vmcnt(0) lgkmcnt(0)
	v_mul_f64 v[24:25], v[32:33], v[22:23]
	v_fma_f64 v[28:29], v[30:31], v[20:21], v[24:25]
	v_mul_f64 v[20:21], v[32:33], v[20:21]
	v_fma_f64 v[30:31], v[30:31], v[22:23], -v[20:21]
	ds_read_b128 v[20:23], v238 offset:11520
	s_clause 0x3
	buffer_load_dword v34, off, s[24:27], 0 offset:684
	buffer_load_dword v35, off, s[24:27], 0 offset:688
	buffer_load_dword v36, off, s[24:27], 0 offset:692
	buffer_load_dword v37, off, s[24:27], 0 offset:696
	s_waitcnt vmcnt(0) lgkmcnt(0)
	v_mul_f64 v[24:25], v[36:37], v[22:23]
	v_fma_f64 v[32:33], v[34:35], v[20:21], v[24:25]
	v_mul_f64 v[20:21], v[36:37], v[20:21]
	v_fma_f64 v[34:35], v[34:35], v[22:23], -v[20:21]
	ds_read_b128 v[20:23], v238 offset:17280
	s_clause 0x3
	buffer_load_dword v38, off, s[24:27], 0 offset:668
	buffer_load_dword v39, off, s[24:27], 0 offset:672
	buffer_load_dword v40, off, s[24:27], 0 offset:676
	buffer_load_dword v41, off, s[24:27], 0 offset:680
	;; [unrolled: 11-line block ×29, first 2 shown]
	s_waitcnt vmcnt(0) lgkmcnt(0)
	v_mul_f64 v[24:25], v[50:51], v[22:23]
	v_fma_f64 v[74:75], v[48:49], v[20:21], v[24:25]
	v_mul_f64 v[20:21], v[50:51], v[20:21]
	v_add_f64 v[24:25], v[32:33], v[40:41]
	v_fma_f64 v[72:73], v[48:49], v[22:23], -v[20:21]
	ds_read_b128 v[20:23], v238
	s_waitcnt lgkmcnt(0)
	v_fma_f64 v[48:49], v[24:25], -0.5, v[20:21]
	v_add_f64 v[24:25], v[34:35], v[42:43]
	v_add_f64 v[20:21], v[20:21], v[32:33]
	v_add_f64 v[32:33], v[32:33], -v[40:41]
	v_fma_f64 v[50:51], v[24:25], -0.5, v[22:23]
	v_add_f64 v[24:25], v[28:29], v[36:37]
	v_add_f64 v[20:21], v[20:21], v[40:41]
	;; [unrolled: 1-line block ×3, first 2 shown]
	v_add_f64 v[34:35], v[34:35], -v[42:43]
	v_add_f64 v[52:53], v[24:25], v[44:45]
	v_add_f64 v[24:25], v[30:31], v[38:39]
	;; [unrolled: 1-line block ×3, first 2 shown]
	v_add_f64 v[42:43], v[38:39], -v[46:47]
	v_add_f64 v[54:55], v[24:25], v[46:47]
	v_add_f64 v[24:25], v[20:21], v[52:53]
	v_add_f64 v[20:21], v[20:21], -v[52:53]
	v_add_f64 v[52:53], v[38:39], v[46:47]
	v_add_f64 v[26:27], v[22:23], v[54:55]
	v_add_f64 v[22:23], v[22:23], -v[54:55]
	v_fma_f64 v[54:55], v[32:33], s[0:1], v[50:51]
	v_fma_f64 v[52:53], v[52:53], -0.5, v[30:31]
	v_add_f64 v[30:31], v[36:37], v[44:45]
	v_add_f64 v[44:45], v[36:37], -v[44:45]
	v_fma_f64 v[40:41], v[30:31], -0.5, v[28:29]
	v_fma_f64 v[28:29], v[44:45], s[0:1], v[52:53]
	v_fma_f64 v[44:45], v[44:45], s[2:3], v[52:53]
	;; [unrolled: 1-line block ×3, first 2 shown]
	v_mul_f64 v[30:31], v[28:29], s[2:3]
	v_mul_f64 v[28:29], v[28:29], 0.5
	v_fma_f64 v[30:31], v[36:37], 0.5, v[30:31]
	v_fma_f64 v[46:47], v[36:37], s[0:1], v[28:29]
	v_fma_f64 v[28:29], v[34:35], s[2:3], v[48:49]
	;; [unrolled: 1-line block ×3, first 2 shown]
	v_add_f64 v[38:39], v[54:55], v[46:47]
	v_add_f64 v[36:37], v[28:29], v[30:31]
	v_add_f64 v[28:29], v[28:29], -v[30:31]
	v_add_f64 v[30:31], v[54:55], -v[46:47]
	v_fma_f64 v[46:47], v[32:33], s[2:3], v[50:51]
	v_fma_f64 v[32:33], v[42:43], s[0:1], v[40:41]
	v_mul_f64 v[40:41], v[44:45], s[2:3]
	v_mul_f64 v[42:43], v[44:45], -0.5
	v_fma_f64 v[44:45], v[32:33], -0.5, v[40:41]
	v_fma_f64 v[48:49], v[32:33], s[0:1], v[42:43]
	v_add_f64 v[40:41], v[34:35], v[44:45]
	v_add_f64 v[42:43], v[46:47], v[48:49]
	v_add_f64 v[32:33], v[34:35], -v[44:45]
	v_add_f64 v[34:35], v[46:47], -v[48:49]
	ds_read_b128 v[44:47], v238 offset:4800
	ds_read_b128 v[134:137], v238 offset:960
	ds_read_b128 v[138:141], v238 offset:1920
	ds_read_b128 v[52:55], v238 offset:2880
	ds_read_b128 v[48:51], v238 offset:3840
	s_waitcnt lgkmcnt(0)
	s_barrier
	buffer_gl0_inv
	buffer_load_dword v142, off, s[24:27], 0 offset:1152 ; 4-byte Folded Reload
	s_waitcnt vmcnt(0)
	ds_write_b128 v142, v[24:27]
	ds_write_b128 v142, v[36:39] offset:160
	ds_write_b128 v142, v[40:43] offset:320
	ds_write_b128 v142, v[20:23] offset:480
	ds_write_b128 v142, v[28:31] offset:640
	ds_write_b128 v142, v[32:35] offset:800
	v_add_f64 v[20:21], v[226:227], v[236:237]
	v_add_f64 v[22:23], v[136:137], v[230:231]
	v_add_f64 v[42:43], v[234:235], -v[242:243]
	v_add_f64 v[142:143], v[232:233], -v[240:241]
	v_fma_f64 v[36:37], v[20:21], -0.5, v[134:135]
	v_add_f64 v[20:21], v[230:231], v[132:133]
	v_add_f64 v[26:27], v[22:23], v[132:133]
	v_add_f64 v[132:133], v[230:231], -v[132:133]
	v_fma_f64 v[38:39], v[20:21], -0.5, v[136:137]
	v_add_f64 v[20:21], v[134:135], v[226:227]
	v_add_f64 v[134:135], v[226:227], -v[236:237]
	v_add_f64 v[24:25], v[20:21], v[236:237]
	v_add_f64 v[20:21], v[224:225], v[234:235]
	v_fma_f64 v[146:147], v[134:135], s[0:1], v[38:39]
	v_add_f64 v[28:29], v[20:21], v[242:243]
	v_add_f64 v[20:21], v[228:229], v[232:233]
	;; [unrolled: 1-line block ×4, first 2 shown]
	v_add_f64 v[24:25], v[24:25], -v[28:29]
	v_add_f64 v[28:29], v[232:233], v[240:241]
	v_add_f64 v[22:23], v[26:27], v[30:31]
	v_add_f64 v[26:27], v[26:27], -v[30:31]
	v_fma_f64 v[40:41], v[28:29], -0.5, v[228:229]
	v_add_f64 v[28:29], v[234:235], v[242:243]
	v_fma_f64 v[136:137], v[28:29], -0.5, v[224:225]
	v_fma_f64 v[28:29], v[42:43], s[0:1], v[40:41]
	v_fma_f64 v[40:41], v[42:43], s[2:3], v[40:41]
	;; [unrolled: 1-line block ×4, first 2 shown]
	v_mul_f64 v[30:31], v[28:29], s[2:3]
	v_mul_f64 v[28:29], v[28:29], 0.5
	v_fma_f64 v[34:35], v[32:33], 0.5, v[30:31]
	v_fma_f64 v[144:145], v[32:33], s[0:1], v[28:29]
	v_fma_f64 v[32:33], v[132:133], s[2:3], v[36:37]
	;; [unrolled: 1-line block ×4, first 2 shown]
	v_mul_f64 v[38:39], v[40:41], s[2:3]
	v_mul_f64 v[40:41], v[40:41], -0.5
	v_add_f64 v[30:31], v[146:147], v[144:145]
	v_add_f64 v[28:29], v[32:33], v[34:35]
	v_add_f64 v[32:33], v[32:33], -v[34:35]
	v_add_f64 v[34:35], v[146:147], -v[144:145]
	v_fma_f64 v[134:135], v[36:37], -0.5, v[38:39]
	v_fma_f64 v[136:137], v[36:37], s[0:1], v[40:41]
	v_add_f64 v[36:37], v[42:43], v[134:135]
	v_add_f64 v[38:39], v[132:133], v[136:137]
	v_add_f64 v[40:41], v[42:43], -v[134:135]
	v_add_f64 v[42:43], v[132:133], -v[136:137]
	buffer_load_dword v132, off, s[24:27], 0 offset:1148 ; 4-byte Folded Reload
	s_waitcnt vmcnt(0)
	ds_write_b128 v132, v[20:23]
	ds_write_b128 v132, v[28:31] offset:160
	ds_write_b128 v132, v[36:39] offset:320
	;; [unrolled: 1-line block ×5, first 2 shown]
	v_add_f64 v[20:21], v[118:119], v[128:129]
	v_add_f64 v[22:23], v[140:141], v[122:123]
	v_add_f64 v[42:43], v[126:127], -v[222:223]
	v_fma_f64 v[36:37], v[20:21], -0.5, v[138:139]
	v_add_f64 v[20:21], v[122:123], v[130:131]
	v_add_f64 v[26:27], v[22:23], v[130:131]
	v_fma_f64 v[38:39], v[20:21], -0.5, v[140:141]
	v_add_f64 v[20:21], v[138:139], v[118:119]
	v_add_f64 v[118:119], v[118:119], -v[128:129]
	v_add_f64 v[24:25], v[20:21], v[128:129]
	v_add_f64 v[20:21], v[116:117], v[126:127]
	;; [unrolled: 1-line block ×6, first 2 shown]
	v_add_f64 v[24:25], v[24:25], -v[28:29]
	v_add_f64 v[28:29], v[124:125], v[220:221]
	v_add_f64 v[22:23], v[26:27], v[30:31]
	v_add_f64 v[26:27], v[26:27], -v[30:31]
	v_fma_f64 v[40:41], v[28:29], -0.5, v[120:121]
	v_add_f64 v[28:29], v[126:127], v[222:223]
	v_add_f64 v[120:121], v[122:123], -v[130:131]
	v_add_f64 v[122:123], v[124:125], -v[220:221]
	v_fma_f64 v[126:127], v[118:119], s[0:1], v[38:39]
	v_fma_f64 v[118:119], v[118:119], s[2:3], v[38:39]
	v_fma_f64 v[116:117], v[28:29], -0.5, v[116:117]
	v_fma_f64 v[28:29], v[42:43], s[0:1], v[40:41]
	v_fma_f64 v[40:41], v[42:43], s[2:3], v[40:41]
	;; [unrolled: 1-line block ×4, first 2 shown]
	v_mul_f64 v[30:31], v[28:29], s[2:3]
	v_mul_f64 v[28:29], v[28:29], 0.5
	v_mul_f64 v[38:39], v[40:41], s[2:3]
	v_mul_f64 v[40:41], v[40:41], -0.5
	v_fma_f64 v[34:35], v[32:33], 0.5, v[30:31]
	v_fma_f64 v[124:125], v[32:33], s[0:1], v[28:29]
	v_fma_f64 v[32:33], v[120:121], s[2:3], v[36:37]
	;; [unrolled: 1-line block ×3, first 2 shown]
	v_add_f64 v[30:31], v[126:127], v[124:125]
	v_add_f64 v[28:29], v[32:33], v[34:35]
	v_fma_f64 v[116:117], v[36:37], -0.5, v[38:39]
	v_fma_f64 v[120:121], v[36:37], s[0:1], v[40:41]
	v_add_f64 v[32:33], v[32:33], -v[34:35]
	v_add_f64 v[34:35], v[126:127], -v[124:125]
	v_add_f64 v[36:37], v[42:43], v[116:117]
	v_add_f64 v[40:41], v[42:43], -v[116:117]
	buffer_load_dword v116, off, s[24:27], 0 offset:1144 ; 4-byte Folded Reload
	v_add_f64 v[38:39], v[118:119], v[120:121]
	v_add_f64 v[42:43], v[118:119], -v[120:121]
	s_waitcnt vmcnt(0)
	ds_write_b128 v116, v[20:23]
	ds_write_b128 v116, v[28:31] offset:160
	ds_write_b128 v116, v[36:39] offset:320
	;; [unrolled: 1-line block ×5, first 2 shown]
	v_add_f64 v[20:21], v[98:99], v[108:109]
	v_add_f64 v[22:23], v[54:55], v[102:103]
	v_add_f64 v[42:43], v[106:107], -v[114:115]
	v_fma_f64 v[36:37], v[20:21], -0.5, v[52:53]
	v_add_f64 v[20:21], v[102:103], v[110:111]
	v_add_f64 v[26:27], v[22:23], v[110:111]
	v_fma_f64 v[38:39], v[20:21], -0.5, v[54:55]
	v_add_f64 v[20:21], v[52:53], v[98:99]
	v_add_f64 v[54:55], v[98:99], -v[108:109]
	v_add_f64 v[98:99], v[104:105], -v[112:113]
	;; [unrolled: 1-line block ×3, first 2 shown]
	v_add_f64 v[24:25], v[20:21], v[108:109]
	v_add_f64 v[20:21], v[96:97], v[106:107]
	v_fma_f64 v[102:103], v[54:55], s[0:1], v[38:39]
	v_add_f64 v[28:29], v[20:21], v[114:115]
	v_add_f64 v[20:21], v[100:101], v[104:105]
	;; [unrolled: 1-line block ×4, first 2 shown]
	v_add_f64 v[24:25], v[24:25], -v[28:29]
	v_add_f64 v[28:29], v[104:105], v[112:113]
	v_add_f64 v[22:23], v[26:27], v[30:31]
	v_add_f64 v[26:27], v[26:27], -v[30:31]
	v_fma_f64 v[40:41], v[28:29], -0.5, v[100:101]
	v_add_f64 v[28:29], v[106:107], v[114:115]
	v_fma_f64 v[96:97], v[28:29], -0.5, v[96:97]
	v_fma_f64 v[28:29], v[42:43], s[0:1], v[40:41]
	v_fma_f64 v[40:41], v[42:43], s[2:3], v[40:41]
	;; [unrolled: 1-line block ×4, first 2 shown]
	v_mul_f64 v[30:31], v[28:29], s[2:3]
	v_mul_f64 v[28:29], v[28:29], 0.5
	v_fma_f64 v[34:35], v[32:33], 0.5, v[30:31]
	v_fma_f64 v[100:101], v[32:33], s[0:1], v[28:29]
	v_fma_f64 v[32:33], v[52:53], s[2:3], v[36:37]
	;; [unrolled: 1-line block ×4, first 2 shown]
	v_mul_f64 v[38:39], v[40:41], s[2:3]
	v_mul_f64 v[40:41], v[40:41], -0.5
	v_add_f64 v[30:31], v[102:103], v[100:101]
	v_add_f64 v[28:29], v[32:33], v[34:35]
	v_add_f64 v[32:33], v[32:33], -v[34:35]
	v_add_f64 v[34:35], v[102:103], -v[100:101]
	v_fma_f64 v[54:55], v[36:37], -0.5, v[38:39]
	v_fma_f64 v[96:97], v[36:37], s[0:1], v[40:41]
	v_add_f64 v[36:37], v[42:43], v[54:55]
	v_add_f64 v[38:39], v[52:53], v[96:97]
	v_add_f64 v[40:41], v[42:43], -v[54:55]
	v_add_f64 v[42:43], v[52:53], -v[96:97]
	buffer_load_dword v52, off, s[24:27], 0 offset:1140 ; 4-byte Folded Reload
	v_add_f64 v[54:55], v[84:85], -v[92:93]
	s_waitcnt vmcnt(0)
	ds_write_b128 v52, v[20:23]
	ds_write_b128 v52, v[28:31] offset:160
	ds_write_b128 v52, v[36:39] offset:320
	;; [unrolled: 1-line block ×5, first 2 shown]
	v_add_f64 v[20:21], v[78:79], v[88:89]
	v_add_f64 v[22:23], v[50:51], v[82:83]
	v_add_f64 v[42:43], v[86:87], -v[94:95]
	v_fma_f64 v[36:37], v[20:21], -0.5, v[48:49]
	v_add_f64 v[20:21], v[82:83], v[90:91]
	v_add_f64 v[26:27], v[22:23], v[90:91]
	v_fma_f64 v[38:39], v[20:21], -0.5, v[50:51]
	v_add_f64 v[20:21], v[48:49], v[78:79]
	v_add_f64 v[48:49], v[82:83], -v[90:91]
	v_add_f64 v[50:51], v[78:79], -v[88:89]
	v_add_f64 v[24:25], v[20:21], v[88:89]
	v_add_f64 v[20:21], v[76:77], v[86:87]
	v_fma_f64 v[78:79], v[50:51], s[0:1], v[38:39]
	v_add_f64 v[28:29], v[20:21], v[94:95]
	v_add_f64 v[20:21], v[80:81], v[84:85]
	;; [unrolled: 1-line block ×4, first 2 shown]
	v_add_f64 v[24:25], v[24:25], -v[28:29]
	v_add_f64 v[28:29], v[84:85], v[92:93]
	v_add_f64 v[22:23], v[26:27], v[30:31]
	v_add_f64 v[26:27], v[26:27], -v[30:31]
	v_fma_f64 v[40:41], v[28:29], -0.5, v[80:81]
	v_add_f64 v[28:29], v[86:87], v[94:95]
	v_fma_f64 v[52:53], v[28:29], -0.5, v[76:77]
	v_fma_f64 v[28:29], v[42:43], s[0:1], v[40:41]
	v_fma_f64 v[40:41], v[42:43], s[2:3], v[40:41]
	;; [unrolled: 1-line block ×4, first 2 shown]
	v_mul_f64 v[30:31], v[28:29], s[2:3]
	v_mul_f64 v[28:29], v[28:29], 0.5
	v_fma_f64 v[34:35], v[32:33], 0.5, v[30:31]
	v_fma_f64 v[76:77], v[32:33], s[0:1], v[28:29]
	v_fma_f64 v[32:33], v[48:49], s[2:3], v[36:37]
	;; [unrolled: 1-line block ×4, first 2 shown]
	v_mul_f64 v[38:39], v[40:41], s[2:3]
	v_mul_f64 v[40:41], v[40:41], -0.5
	v_add_f64 v[30:31], v[78:79], v[76:77]
	v_add_f64 v[28:29], v[32:33], v[34:35]
	v_add_f64 v[32:33], v[32:33], -v[34:35]
	v_add_f64 v[34:35], v[78:79], -v[76:77]
	v_fma_f64 v[50:51], v[36:37], -0.5, v[38:39]
	v_fma_f64 v[52:53], v[36:37], s[0:1], v[40:41]
	v_add_f64 v[36:37], v[42:43], v[50:51]
	v_add_f64 v[38:39], v[48:49], v[52:53]
	v_add_f64 v[40:41], v[42:43], -v[50:51]
	v_add_f64 v[42:43], v[48:49], -v[52:53]
	buffer_load_dword v48, off, s[24:27], 0 offset:1136 ; 4-byte Folded Reload
	v_add_f64 v[50:51], v[64:65], -v[72:73]
	s_waitcnt vmcnt(0)
	ds_write_b128 v48, v[20:23]
	ds_write_b128 v48, v[28:31] offset:160
	ds_write_b128 v48, v[36:39] offset:320
	ds_write_b128 v48, v[24:27] offset:480
	ds_write_b128 v48, v[32:35] offset:640
	ds_write_b128 v48, v[40:43] offset:800
	v_add_f64 v[20:21], v[58:59], v[68:69]
	v_add_f64 v[22:23], v[46:47], v[62:63]
	v_add_f64 v[42:43], v[66:67], -v[74:75]
	v_fma_f64 v[36:37], v[20:21], -0.5, v[44:45]
	v_add_f64 v[20:21], v[62:63], v[70:71]
	v_add_f64 v[26:27], v[22:23], v[70:71]
	v_fma_f64 v[38:39], v[20:21], -0.5, v[46:47]
	v_add_f64 v[20:21], v[44:45], v[58:59]
	v_add_f64 v[44:45], v[62:63], -v[70:71]
	v_add_f64 v[46:47], v[58:59], -v[68:69]
	v_add_f64 v[24:25], v[20:21], v[68:69]
	v_add_f64 v[20:21], v[56:57], v[66:67]
	v_fma_f64 v[54:55], v[46:47], s[0:1], v[38:39]
	v_add_f64 v[28:29], v[20:21], v[74:75]
	v_add_f64 v[20:21], v[60:61], v[64:65]
	;; [unrolled: 1-line block ×4, first 2 shown]
	v_add_f64 v[24:25], v[24:25], -v[28:29]
	v_add_f64 v[28:29], v[64:65], v[72:73]
	v_add_f64 v[22:23], v[26:27], v[30:31]
	v_add_f64 v[26:27], v[26:27], -v[30:31]
	v_fma_f64 v[40:41], v[28:29], -0.5, v[60:61]
	v_add_f64 v[28:29], v[66:67], v[74:75]
	v_fma_f64 v[48:49], v[28:29], -0.5, v[56:57]
	v_fma_f64 v[28:29], v[42:43], s[0:1], v[40:41]
	v_fma_f64 v[40:41], v[42:43], s[2:3], v[40:41]
	;; [unrolled: 1-line block ×4, first 2 shown]
	v_mul_f64 v[30:31], v[28:29], s[2:3]
	v_mul_f64 v[28:29], v[28:29], 0.5
	v_fma_f64 v[34:35], v[32:33], 0.5, v[30:31]
	v_fma_f64 v[52:53], v[32:33], s[0:1], v[28:29]
	v_fma_f64 v[32:33], v[44:45], s[2:3], v[36:37]
	v_fma_f64 v[44:45], v[46:47], s[2:3], v[38:39]
	v_fma_f64 v[36:37], v[50:51], s[0:1], v[48:49]
	v_mul_f64 v[38:39], v[40:41], s[2:3]
	v_mul_f64 v[40:41], v[40:41], -0.5
	v_add_f64 v[30:31], v[54:55], v[52:53]
	v_add_f64 v[28:29], v[32:33], v[34:35]
	v_add_f64 v[32:33], v[32:33], -v[34:35]
	v_add_f64 v[34:35], v[54:55], -v[52:53]
	v_fma_f64 v[46:47], v[36:37], -0.5, v[38:39]
	v_fma_f64 v[48:49], v[36:37], s[0:1], v[40:41]
	v_add_f64 v[36:37], v[42:43], v[46:47]
	v_add_f64 v[38:39], v[44:45], v[48:49]
	v_add_f64 v[40:41], v[42:43], -v[46:47]
	v_add_f64 v[42:43], v[44:45], -v[48:49]
	buffer_load_dword v44, off, s[24:27], 0 offset:1132 ; 4-byte Folded Reload
	s_waitcnt vmcnt(0)
	ds_write_b128 v44, v[20:23]
	ds_write_b128 v44, v[28:31] offset:160
	ds_write_b128 v44, v[36:39] offset:320
	;; [unrolled: 1-line block ×5, first 2 shown]
	s_waitcnt lgkmcnt(0)
	s_barrier
	buffer_gl0_inv
	ds_read_b128 v[20:23], v238 offset:5760
	s_waitcnt lgkmcnt(0)
	v_mul_f64 v[24:25], v[14:15], v[22:23]
	v_fma_f64 v[24:25], v[12:13], v[20:21], v[24:25]
	v_mul_f64 v[20:21], v[14:15], v[20:21]
	v_fma_f64 v[26:27], v[12:13], v[22:23], -v[20:21]
	ds_read_b128 v[20:23], v238 offset:6720
	s_waitcnt lgkmcnt(0)
	v_mul_f64 v[28:29], v[14:15], v[22:23]
	v_mul_f64 v[14:15], v[14:15], v[20:21]
	v_fma_f64 v[28:29], v[12:13], v[20:21], v[28:29]
	v_fma_f64 v[30:31], v[12:13], v[22:23], -v[14:15]
	ds_read_b128 v[12:15], v238 offset:11520
	s_waitcnt lgkmcnt(0)
	v_mul_f64 v[20:21], v[10:11], v[14:15]
	v_fma_f64 v[20:21], v[8:9], v[12:13], v[20:21]
	v_mul_f64 v[12:13], v[10:11], v[12:13]
	v_fma_f64 v[22:23], v[8:9], v[14:15], -v[12:13]
	ds_read_b128 v[12:15], v238 offset:12480
	s_waitcnt lgkmcnt(0)
	v_mul_f64 v[32:33], v[10:11], v[14:15]
	v_mul_f64 v[10:11], v[10:11], v[12:13]
	v_fma_f64 v[36:37], v[8:9], v[12:13], v[32:33]
	v_fma_f64 v[38:39], v[8:9], v[14:15], -v[10:11]
	;; [unrolled: 12-line block ×4, first 2 shown]
	ds_read_b128 v[0:3], v238 offset:28800
	s_waitcnt lgkmcnt(0)
	v_mul_f64 v[4:5], v[18:19], v[2:3]
	v_fma_f64 v[32:33], v[16:17], v[0:1], v[4:5]
	v_mul_f64 v[0:1], v[18:19], v[0:1]
	v_fma_f64 v[34:35], v[16:17], v[2:3], -v[0:1]
	ds_read_b128 v[0:3], v238 offset:29760
	s_waitcnt lgkmcnt(0)
	v_mul_f64 v[4:5], v[18:19], v[2:3]
	v_fma_f64 v[48:49], v[16:17], v[0:1], v[4:5]
	v_mul_f64 v[0:1], v[18:19], v[0:1]
	v_fma_f64 v[50:51], v[16:17], v[2:3], -v[0:1]
	ds_read_b128 v[0:3], v238 offset:7680
	s_clause 0x3
	buffer_load_dword v16, off, s[24:27], 0 offset:1208
	buffer_load_dword v17, off, s[24:27], 0 offset:1212
	buffer_load_dword v18, off, s[24:27], 0 offset:1216
	buffer_load_dword v19, off, s[24:27], 0 offset:1220
	s_waitcnt vmcnt(0) lgkmcnt(0)
	v_mul_f64 v[4:5], v[18:19], v[2:3]
	v_fma_f64 v[52:53], v[16:17], v[0:1], v[4:5]
	v_mul_f64 v[0:1], v[18:19], v[0:1]
	v_fma_f64 v[54:55], v[16:17], v[2:3], -v[0:1]
	ds_read_b128 v[0:3], v238 offset:13440
	s_clause 0x3
	buffer_load_dword v16, off, s[24:27], 0 offset:1192
	buffer_load_dword v17, off, s[24:27], 0 offset:1196
	buffer_load_dword v18, off, s[24:27], 0 offset:1200
	buffer_load_dword v19, off, s[24:27], 0 offset:1204
	s_waitcnt vmcnt(0) lgkmcnt(0)
	;; [unrolled: 11-line block ×20, first 2 shown]
	v_mul_f64 v[4:5], v[18:19], v[2:3]
	v_fma_f64 v[94:95], v[16:17], v[0:1], v[4:5]
	v_mul_f64 v[0:1], v[18:19], v[0:1]
	v_add_f64 v[4:5], v[20:21], v[8:9]
	v_fma_f64 v[92:93], v[16:17], v[2:3], -v[0:1]
	ds_read_b128 v[0:3], v238
	s_waitcnt lgkmcnt(0)
	v_fma_f64 v[16:17], v[4:5], -0.5, v[0:1]
	v_add_f64 v[4:5], v[22:23], v[10:11]
	v_add_f64 v[0:1], v[0:1], v[20:21]
	v_fma_f64 v[18:19], v[4:5], -0.5, v[2:3]
	v_add_f64 v[4:5], v[24:25], v[12:13]
	v_add_f64 v[0:1], v[0:1], v[8:9]
	;; [unrolled: 1-line block ×8, first 2 shown]
	v_add_f64 v[0:1], v[0:1], -v[56:57]
	v_add_f64 v[56:57], v[14:15], v[34:35]
	v_add_f64 v[14:15], v[14:15], -v[34:35]
	v_add_f64 v[6:7], v[2:3], v[58:59]
	v_add_f64 v[2:3], v[2:3], -v[58:59]
	v_add_f64 v[58:59], v[20:21], -v[8:9]
	v_fma_f64 v[26:27], v[56:57], -0.5, v[26:27]
	v_add_f64 v[56:57], v[12:13], v[32:33]
	v_add_f64 v[12:13], v[12:13], -v[32:33]
	v_add_f64 v[32:33], v[22:23], -v[10:11]
	v_fma_f64 v[24:25], v[56:57], -0.5, v[24:25]
	v_fma_f64 v[8:9], v[12:13], s[0:1], v[26:27]
	v_fma_f64 v[12:13], v[12:13], s[2:3], v[26:27]
	;; [unrolled: 1-line block ×5, first 2 shown]
	v_mul_f64 v[10:11], v[8:9], s[2:3]
	v_mul_f64 v[8:9], v[8:9], 0.5
	v_fma_f64 v[14:15], v[14:15], s[0:1], v[24:25]
	v_mul_f64 v[24:25], v[12:13], s[2:3]
	v_mul_f64 v[12:13], v[12:13], -0.5
	v_fma_f64 v[10:11], v[20:21], 0.5, v[10:11]
	v_fma_f64 v[34:35], v[20:21], s[0:1], v[8:9]
	v_fma_f64 v[8:9], v[32:33], s[2:3], v[16:17]
	;; [unrolled: 1-line block ×3, first 2 shown]
	v_fma_f64 v[24:25], v[14:15], -0.5, v[24:25]
	v_fma_f64 v[12:13], v[14:15], s[0:1], v[12:13]
	v_add_f64 v[22:23], v[56:57], v[34:35]
	v_add_f64 v[20:21], v[8:9], v[10:11]
	v_add_f64 v[8:9], v[8:9], -v[10:11]
	v_add_f64 v[32:33], v[16:17], v[24:25]
	v_add_f64 v[16:17], v[16:17], -v[24:25]
	;; [unrolled: 2-line block ×4, first 2 shown]
	ds_read_b128 v[12:15], v238 offset:960
	s_waitcnt lgkmcnt(0)
	v_fma_f64 v[56:57], v[24:25], -0.5, v[12:13]
	v_add_f64 v[24:25], v[38:39], v[46:47]
	v_add_f64 v[12:13], v[12:13], v[36:37]
	v_add_f64 v[36:37], v[36:37], -v[44:45]
	v_fma_f64 v[58:59], v[24:25], -0.5, v[14:15]
	v_add_f64 v[24:25], v[28:29], v[40:41]
	v_add_f64 v[12:13], v[12:13], v[44:45]
	;; [unrolled: 1-line block ×3, first 2 shown]
	v_add_f64 v[38:39], v[38:39], -v[46:47]
	v_add_f64 v[132:133], v[24:25], v[48:49]
	v_add_f64 v[24:25], v[30:31], v[42:43]
	;; [unrolled: 1-line block ×5, first 2 shown]
	v_add_f64 v[12:13], v[12:13], -v[132:133]
	v_add_f64 v[132:133], v[42:43], v[50:51]
	v_add_f64 v[42:43], v[42:43], -v[50:51]
	v_add_f64 v[26:27], v[14:15], v[134:135]
	v_add_f64 v[14:15], v[14:15], -v[134:135]
	v_fma_f64 v[134:135], v[36:37], s[0:1], v[58:59]
	v_fma_f64 v[132:133], v[132:133], -0.5, v[30:31]
	v_add_f64 v[30:31], v[40:41], v[48:49]
	v_add_f64 v[40:41], v[40:41], -v[48:49]
	v_fma_f64 v[36:37], v[36:37], s[2:3], v[58:59]
	v_fma_f64 v[48:49], v[30:31], -0.5, v[28:29]
	v_fma_f64 v[28:29], v[40:41], s[0:1], v[132:133]
	v_fma_f64 v[40:41], v[40:41], s[2:3], v[132:133]
	;; [unrolled: 1-line block ×3, first 2 shown]
	v_mul_f64 v[30:31], v[28:29], s[2:3]
	v_mul_f64 v[28:29], v[28:29], 0.5
	v_fma_f64 v[42:43], v[42:43], s[0:1], v[48:49]
	v_mul_f64 v[48:49], v[40:41], s[2:3]
	v_mul_f64 v[40:41], v[40:41], -0.5
	v_fma_f64 v[30:31], v[44:45], 0.5, v[30:31]
	v_fma_f64 v[50:51], v[44:45], s[0:1], v[28:29]
	v_fma_f64 v[28:29], v[38:39], s[2:3], v[56:57]
	;; [unrolled: 1-line block ×3, first 2 shown]
	v_fma_f64 v[48:49], v[42:43], -0.5, v[48:49]
	v_fma_f64 v[42:43], v[42:43], s[0:1], v[40:41]
	v_add_f64 v[46:47], v[134:135], v[50:51]
	v_add_f64 v[44:45], v[28:29], v[30:31]
	v_add_f64 v[28:29], v[28:29], -v[30:31]
	v_add_f64 v[56:57], v[38:39], v[48:49]
	v_add_f64 v[40:41], v[38:39], -v[48:49]
	v_add_f64 v[48:49], v[60:61], v[68:69]
	v_add_f64 v[58:59], v[36:37], v[42:43]
	v_add_f64 v[42:43], v[36:37], -v[42:43]
	ds_read_b128 v[36:39], v238 offset:1920
	v_add_f64 v[30:31], v[134:135], -v[50:51]
	s_waitcnt lgkmcnt(0)
	v_fma_f64 v[132:133], v[48:49], -0.5, v[36:37]
	v_add_f64 v[48:49], v[62:63], v[70:71]
	v_add_f64 v[36:37], v[36:37], v[60:61]
	v_add_f64 v[60:61], v[60:61], -v[68:69]
	v_fma_f64 v[134:135], v[48:49], -0.5, v[38:39]
	v_add_f64 v[48:49], v[52:53], v[64:65]
	v_add_f64 v[36:37], v[36:37], v[68:69]
	;; [unrolled: 1-line block ×3, first 2 shown]
	v_add_f64 v[62:63], v[62:63], -v[70:71]
	v_add_f64 v[136:137], v[48:49], v[72:73]
	v_add_f64 v[48:49], v[54:55], v[66:67]
	;; [unrolled: 1-line block ×3, first 2 shown]
	v_add_f64 v[70:71], v[66:67], -v[74:75]
	v_add_f64 v[138:139], v[48:49], v[74:75]
	v_add_f64 v[48:49], v[36:37], v[136:137]
	v_add_f64 v[36:37], v[36:37], -v[136:137]
	v_add_f64 v[136:137], v[66:67], v[74:75]
	v_add_f64 v[50:51], v[38:39], v[138:139]
	v_add_f64 v[38:39], v[38:39], -v[138:139]
	v_fma_f64 v[138:139], v[60:61], s[0:1], v[134:135]
	v_fma_f64 v[136:137], v[136:137], -0.5, v[54:55]
	v_add_f64 v[54:55], v[64:65], v[72:73]
	v_add_f64 v[72:73], v[64:65], -v[72:73]
	v_fma_f64 v[68:69], v[54:55], -0.5, v[52:53]
	v_fma_f64 v[52:53], v[72:73], s[0:1], v[136:137]
	v_fma_f64 v[72:73], v[72:73], s[2:3], v[136:137]
	;; [unrolled: 1-line block ×3, first 2 shown]
	v_mul_f64 v[54:55], v[52:53], s[2:3]
	v_mul_f64 v[52:53], v[52:53], 0.5
	v_fma_f64 v[54:55], v[64:65], 0.5, v[54:55]
	v_fma_f64 v[74:75], v[64:65], s[0:1], v[52:53]
	v_fma_f64 v[52:53], v[62:63], s[2:3], v[132:133]
	;; [unrolled: 1-line block ×3, first 2 shown]
	v_add_f64 v[66:67], v[138:139], v[74:75]
	v_add_f64 v[64:65], v[52:53], v[54:55]
	v_add_f64 v[52:53], v[52:53], -v[54:55]
	v_add_f64 v[54:55], v[138:139], -v[74:75]
	v_fma_f64 v[74:75], v[60:61], s[2:3], v[134:135]
	v_fma_f64 v[60:61], v[70:71], s[0:1], v[68:69]
	v_mul_f64 v[68:69], v[72:73], s[2:3]
	v_mul_f64 v[70:71], v[72:73], -0.5
	v_fma_f64 v[72:73], v[60:61], -0.5, v[68:69]
	v_fma_f64 v[132:133], v[60:61], s[0:1], v[70:71]
	v_add_f64 v[68:69], v[62:63], v[72:73]
	v_add_f64 v[70:71], v[74:75], v[132:133]
	v_add_f64 v[60:61], v[62:63], -v[72:73]
	v_add_f64 v[62:63], v[74:75], -v[132:133]
	ds_read_b128 v[72:75], v238 offset:4800
	ds_read_b128 v[132:135], v238 offset:2880
	;; [unrolled: 1-line block ×3, first 2 shown]
	s_waitcnt lgkmcnt(0)
	s_barrier
	buffer_gl0_inv
	ds_write_b128 v238, v[4:7]
	ds_write_b128 v238, v[20:23] offset:960
	ds_write_b128 v238, v[32:35] offset:1920
	;; [unrolled: 1-line block ×17, first 2 shown]
	v_add_f64 v[0:1], v[118:119], v[128:129]
	v_add_f64 v[22:23], v[126:127], -v[222:223]
	v_add_f64 v[30:31], v[124:125], -v[220:221]
	;; [unrolled: 1-line block ×4, first 2 shown]
	v_add_f64 v[2:3], v[134:135], v[122:123]
	v_fma_f64 v[16:17], v[0:1], -0.5, v[132:133]
	v_add_f64 v[0:1], v[122:123], v[130:131]
	v_add_f64 v[6:7], v[2:3], v[130:131]
	v_fma_f64 v[18:19], v[0:1], -0.5, v[134:135]
	v_add_f64 v[0:1], v[132:133], v[118:119]
	v_fma_f64 v[34:35], v[26:27], s[0:1], v[18:19]
	v_add_f64 v[4:5], v[0:1], v[128:129]
	v_add_f64 v[0:1], v[116:117], v[126:127]
	v_add_f64 v[8:9], v[0:1], v[222:223]
	v_add_f64 v[0:1], v[120:121], v[124:125]
	v_add_f64 v[10:11], v[0:1], v[220:221]
	v_add_f64 v[0:1], v[4:5], v[8:9]
	v_add_f64 v[4:5], v[4:5], -v[8:9]
	v_add_f64 v[8:9], v[124:125], v[220:221]
	v_add_f64 v[2:3], v[6:7], v[10:11]
	v_add_f64 v[6:7], v[6:7], -v[10:11]
	v_fma_f64 v[20:21], v[8:9], -0.5, v[120:121]
	v_add_f64 v[8:9], v[126:127], v[222:223]
	v_fma_f64 v[28:29], v[8:9], -0.5, v[116:117]
	v_fma_f64 v[8:9], v[22:23], s[0:1], v[20:21]
	v_fma_f64 v[20:21], v[22:23], s[2:3], v[20:21]
	;; [unrolled: 1-line block ×4, first 2 shown]
	v_mul_f64 v[10:11], v[8:9], s[2:3]
	v_mul_f64 v[8:9], v[8:9], 0.5
	v_fma_f64 v[14:15], v[12:13], 0.5, v[10:11]
	v_fma_f64 v[32:33], v[12:13], s[0:1], v[8:9]
	v_fma_f64 v[12:13], v[24:25], s[2:3], v[16:17]
	;; [unrolled: 1-line block ×4, first 2 shown]
	v_mul_f64 v[18:19], v[20:21], s[2:3]
	v_mul_f64 v[20:21], v[20:21], -0.5
	v_add_f64 v[30:31], v[104:105], -v[112:113]
	v_add_f64 v[10:11], v[34:35], v[32:33]
	v_add_f64 v[8:9], v[12:13], v[14:15]
	v_add_f64 v[12:13], v[12:13], -v[14:15]
	v_add_f64 v[14:15], v[34:35], -v[32:33]
	v_fma_f64 v[26:27], v[16:17], -0.5, v[18:19]
	v_fma_f64 v[28:29], v[16:17], s[0:1], v[20:21]
	v_add_f64 v[16:17], v[22:23], v[26:27]
	v_add_f64 v[18:19], v[24:25], v[28:29]
	v_add_f64 v[20:21], v[22:23], -v[26:27]
	v_add_f64 v[22:23], v[24:25], -v[28:29]
	ds_write_b128 v190, v[0:3] offset:17280
	ds_write_b128 v190, v[8:11] offset:18240
	;; [unrolled: 1-line block ×6, first 2 shown]
	v_add_f64 v[0:1], v[98:99], v[108:109]
	v_add_f64 v[2:3], v[138:139], v[102:103]
	v_add_f64 v[22:23], v[106:107], -v[114:115]
	v_add_f64 v[24:25], v[102:103], -v[110:111]
	;; [unrolled: 1-line block ×3, first 2 shown]
	v_fma_f64 v[16:17], v[0:1], -0.5, v[136:137]
	v_add_f64 v[0:1], v[102:103], v[110:111]
	v_add_f64 v[6:7], v[2:3], v[110:111]
	v_fma_f64 v[18:19], v[0:1], -0.5, v[138:139]
	v_add_f64 v[0:1], v[136:137], v[98:99]
	v_fma_f64 v[34:35], v[26:27], s[0:1], v[18:19]
	v_add_f64 v[4:5], v[0:1], v[108:109]
	v_add_f64 v[0:1], v[96:97], v[106:107]
	;; [unrolled: 1-line block ×6, first 2 shown]
	v_add_f64 v[4:5], v[4:5], -v[8:9]
	v_add_f64 v[8:9], v[104:105], v[112:113]
	v_add_f64 v[2:3], v[6:7], v[10:11]
	v_add_f64 v[6:7], v[6:7], -v[10:11]
	v_fma_f64 v[20:21], v[8:9], -0.5, v[100:101]
	v_add_f64 v[8:9], v[106:107], v[114:115]
	v_fma_f64 v[28:29], v[8:9], -0.5, v[96:97]
	v_fma_f64 v[8:9], v[22:23], s[0:1], v[20:21]
	v_fma_f64 v[20:21], v[22:23], s[2:3], v[20:21]
	;; [unrolled: 1-line block ×4, first 2 shown]
	v_mul_f64 v[10:11], v[8:9], s[2:3]
	v_mul_f64 v[8:9], v[8:9], 0.5
	v_fma_f64 v[14:15], v[12:13], 0.5, v[10:11]
	v_fma_f64 v[32:33], v[12:13], s[0:1], v[8:9]
	v_fma_f64 v[12:13], v[24:25], s[2:3], v[16:17]
	;; [unrolled: 1-line block ×4, first 2 shown]
	v_mul_f64 v[18:19], v[20:21], s[2:3]
	v_mul_f64 v[20:21], v[20:21], -0.5
	v_add_f64 v[30:31], v[84:85], -v[92:93]
	v_add_f64 v[10:11], v[34:35], v[32:33]
	v_add_f64 v[8:9], v[12:13], v[14:15]
	v_add_f64 v[12:13], v[12:13], -v[14:15]
	v_add_f64 v[14:15], v[34:35], -v[32:33]
	v_fma_f64 v[26:27], v[16:17], -0.5, v[18:19]
	v_fma_f64 v[28:29], v[16:17], s[0:1], v[20:21]
	v_add_f64 v[16:17], v[22:23], v[26:27]
	v_add_f64 v[18:19], v[24:25], v[28:29]
	v_add_f64 v[20:21], v[22:23], -v[26:27]
	v_add_f64 v[22:23], v[24:25], -v[28:29]
	buffer_load_dword v24, off, s[24:27], 0 offset:1488 ; 4-byte Folded Reload
	s_waitcnt vmcnt(0)
	ds_write_b128 v24, v[0:3] offset:23040
	ds_write_b128 v24, v[8:11] offset:24000
	ds_write_b128 v24, v[16:19] offset:24960
	ds_write_b128 v24, v[4:7] offset:25920
	ds_write_b128 v24, v[12:15] offset:26880
	ds_write_b128 v24, v[20:23] offset:27840
	v_add_f64 v[0:1], v[78:79], v[88:89]
	v_add_f64 v[2:3], v[74:75], v[82:83]
	v_add_f64 v[22:23], v[86:87], -v[94:95]
	v_add_f64 v[24:25], v[82:83], -v[90:91]
	;; [unrolled: 1-line block ×3, first 2 shown]
	v_fma_f64 v[16:17], v[0:1], -0.5, v[72:73]
	v_add_f64 v[0:1], v[82:83], v[90:91]
	v_add_f64 v[6:7], v[2:3], v[90:91]
	v_fma_f64 v[18:19], v[0:1], -0.5, v[74:75]
	v_add_f64 v[0:1], v[72:73], v[78:79]
	v_fma_f64 v[34:35], v[26:27], s[0:1], v[18:19]
	v_add_f64 v[4:5], v[0:1], v[88:89]
	v_add_f64 v[0:1], v[76:77], v[86:87]
	;; [unrolled: 1-line block ×6, first 2 shown]
	v_add_f64 v[4:5], v[4:5], -v[8:9]
	v_add_f64 v[8:9], v[84:85], v[92:93]
	v_add_f64 v[2:3], v[6:7], v[10:11]
	v_add_f64 v[6:7], v[6:7], -v[10:11]
	v_fma_f64 v[20:21], v[8:9], -0.5, v[80:81]
	v_add_f64 v[8:9], v[86:87], v[94:95]
	v_fma_f64 v[28:29], v[8:9], -0.5, v[76:77]
	v_fma_f64 v[8:9], v[22:23], s[0:1], v[20:21]
	v_fma_f64 v[20:21], v[22:23], s[2:3], v[20:21]
	;; [unrolled: 1-line block ×4, first 2 shown]
	v_mul_f64 v[10:11], v[8:9], s[2:3]
	v_mul_f64 v[8:9], v[8:9], 0.5
	v_fma_f64 v[14:15], v[12:13], 0.5, v[10:11]
	v_fma_f64 v[32:33], v[12:13], s[0:1], v[8:9]
	v_fma_f64 v[12:13], v[24:25], s[2:3], v[16:17]
	;; [unrolled: 1-line block ×4, first 2 shown]
	v_mul_f64 v[18:19], v[20:21], s[2:3]
	v_mul_f64 v[20:21], v[20:21], -0.5
	v_add_f64 v[10:11], v[34:35], v[32:33]
	v_add_f64 v[8:9], v[12:13], v[14:15]
	v_add_f64 v[12:13], v[12:13], -v[14:15]
	v_add_f64 v[14:15], v[34:35], -v[32:33]
	v_fma_f64 v[26:27], v[16:17], -0.5, v[18:19]
	v_fma_f64 v[28:29], v[16:17], s[0:1], v[20:21]
	v_add_f64 v[16:17], v[22:23], v[26:27]
	v_add_f64 v[18:19], v[24:25], v[28:29]
	v_add_f64 v[20:21], v[22:23], -v[26:27]
	v_add_f64 v[22:23], v[24:25], -v[28:29]
	buffer_load_dword v24, off, s[24:27], 0 offset:1484 ; 4-byte Folded Reload
	s_waitcnt vmcnt(0)
	ds_write_b128 v24, v[0:3] offset:28800
	ds_write_b128 v24, v[8:11] offset:29760
	;; [unrolled: 1-line block ×6, first 2 shown]
	s_waitcnt lgkmcnt(0)
	s_barrier
	buffer_gl0_inv
	ds_read_b128 v[0:3], v238 offset:5760
	s_clause 0x3
	buffer_load_dword v10, off, s[24:27], 0 offset:1524
	buffer_load_dword v11, off, s[24:27], 0 offset:1528
	buffer_load_dword v12, off, s[24:27], 0 offset:1532
	buffer_load_dword v13, off, s[24:27], 0 offset:1536
	s_waitcnt vmcnt(0) lgkmcnt(0)
	v_mul_f64 v[4:5], v[12:13], v[2:3]
	v_fma_f64 v[8:9], v[10:11], v[0:1], v[4:5]
	v_mul_f64 v[0:1], v[12:13], v[0:1]
	v_fma_f64 v[10:11], v[10:11], v[2:3], -v[0:1]
	ds_read_b128 v[0:3], v238 offset:11520
	s_clause 0x3
	buffer_load_dword v14, off, s[24:27], 0 offset:1540
	buffer_load_dword v15, off, s[24:27], 0 offset:1544
	buffer_load_dword v16, off, s[24:27], 0 offset:1548
	buffer_load_dword v17, off, s[24:27], 0 offset:1552
	s_waitcnt vmcnt(0) lgkmcnt(0)
	v_mul_f64 v[4:5], v[16:17], v[2:3]
	v_fma_f64 v[12:13], v[14:15], v[0:1], v[4:5]
	v_mul_f64 v[0:1], v[16:17], v[0:1]
	v_fma_f64 v[14:15], v[14:15], v[2:3], -v[0:1]
	;; [unrolled: 11-line block ×20, first 2 shown]
	ds_read_b128 v[0:3], v238 offset:9600
	s_waitcnt lgkmcnt(0)
	v_mul_f64 v[4:5], v[194:195], v[2:3]
	v_fma_f64 v[100:101], v[192:193], v[0:1], v[4:5]
	v_mul_f64 v[0:1], v[194:195], v[0:1]
	v_fma_f64 v[102:103], v[192:193], v[2:3], -v[0:1]
	ds_read_b128 v[0:3], v238 offset:15360
	s_clause 0x3
	buffer_load_dword v32, off, s[24:27], 0 offset:1844
	buffer_load_dword v33, off, s[24:27], 0 offset:1848
	buffer_load_dword v34, off, s[24:27], 0 offset:1852
	buffer_load_dword v35, off, s[24:27], 0 offset:1856
	s_waitcnt vmcnt(0) lgkmcnt(0)
	v_mul_f64 v[4:5], v[34:35], v[2:3]
	v_fma_f64 v[108:109], v[32:33], v[0:1], v[4:5]
	v_mul_f64 v[0:1], v[34:35], v[0:1]
	v_fma_f64 v[110:111], v[32:33], v[2:3], -v[0:1]
	ds_read_b128 v[0:3], v238 offset:21120
	s_clause 0x3
	buffer_load_dword v32, off, s[24:27], 0 offset:1828
	buffer_load_dword v33, off, s[24:27], 0 offset:1832
	buffer_load_dword v34, off, s[24:27], 0 offset:1836
	buffer_load_dword v35, off, s[24:27], 0 offset:1840
	s_waitcnt vmcnt(0) lgkmcnt(0)
	;; [unrolled: 11-line block ×3, first 2 shown]
	v_mul_f64 v[4:5], v[34:35], v[2:3]
	v_fma_f64 v[116:117], v[32:33], v[0:1], v[4:5]
	v_mul_f64 v[0:1], v[34:35], v[0:1]
	v_fma_f64 v[118:119], v[32:33], v[2:3], -v[0:1]
	ds_read_b128 v[0:3], v238 offset:32640
	s_waitcnt lgkmcnt(0)
	v_mul_f64 v[4:5], v[202:203], v[2:3]
	v_fma_f64 v[140:141], v[200:201], v[0:1], v[4:5]
	v_mul_f64 v[0:1], v[202:203], v[0:1]
	v_fma_f64 v[142:143], v[200:201], v[2:3], -v[0:1]
	ds_read_b128 v[0:3], v238 offset:10560
	s_waitcnt lgkmcnt(0)
	;; [unrolled: 6-line block ×6, first 2 shown]
	v_mul_f64 v[4:5], v[218:219], v[2:3]
	v_fma_f64 v[138:139], v[216:217], v[0:1], v[4:5]
	v_mul_f64 v[0:1], v[218:219], v[0:1]
	v_add_f64 v[4:5], v[12:13], v[20:21]
	v_fma_f64 v[136:137], v[216:217], v[2:3], -v[0:1]
	ds_read_b128 v[0:3], v238
	s_waitcnt lgkmcnt(0)
	v_fma_f64 v[32:33], v[4:5], -0.5, v[0:1]
	v_add_f64 v[4:5], v[14:15], v[22:23]
	v_add_f64 v[0:1], v[0:1], v[12:13]
	v_add_f64 v[12:13], v[12:13], -v[20:21]
	v_fma_f64 v[34:35], v[4:5], -0.5, v[2:3]
	v_add_f64 v[4:5], v[8:9], v[16:17]
	v_add_f64 v[0:1], v[0:1], v[20:21]
	v_add_f64 v[2:3], v[2:3], v[14:15]
	v_add_f64 v[14:15], v[14:15], -v[22:23]
	v_add_f64 v[56:57], v[4:5], v[24:25]
	v_add_f64 v[4:5], v[10:11], v[18:19]
	v_add_f64 v[2:3], v[2:3], v[22:23]
	v_add_f64 v[58:59], v[4:5], v[26:27]
	v_add_f64 v[4:5], v[0:1], v[56:57]
	v_add_f64 v[0:1], v[0:1], -v[56:57]
	v_add_f64 v[56:57], v[18:19], v[26:27]
	v_add_f64 v[18:19], v[18:19], -v[26:27]
	v_add_f64 v[6:7], v[2:3], v[58:59]
	v_add_f64 v[2:3], v[2:3], -v[58:59]
	v_fma_f64 v[58:59], v[12:13], s[0:1], v[34:35]
	v_fma_f64 v[56:57], v[56:57], -0.5, v[10:11]
	v_add_f64 v[10:11], v[16:17], v[24:25]
	v_add_f64 v[16:17], v[16:17], -v[24:25]
	v_fma_f64 v[12:13], v[12:13], s[2:3], v[34:35]
	v_fma_f64 v[24:25], v[10:11], -0.5, v[8:9]
	v_fma_f64 v[8:9], v[16:17], s[0:1], v[56:57]
	v_fma_f64 v[16:17], v[16:17], s[2:3], v[56:57]
	v_fma_f64 v[20:21], v[18:19], s[2:3], v[24:25]
	v_mul_f64 v[10:11], v[8:9], s[2:3]
	v_mul_f64 v[8:9], v[8:9], 0.5
	v_fma_f64 v[18:19], v[18:19], s[0:1], v[24:25]
	v_mul_f64 v[24:25], v[16:17], s[2:3]
	v_mul_f64 v[16:17], v[16:17], -0.5
	v_fma_f64 v[10:11], v[20:21], 0.5, v[10:11]
	v_fma_f64 v[26:27], v[20:21], s[0:1], v[8:9]
	v_fma_f64 v[8:9], v[14:15], s[2:3], v[32:33]
	v_fma_f64 v[14:15], v[14:15], s[0:1], v[32:33]
	v_fma_f64 v[24:25], v[18:19], -0.5, v[24:25]
	v_fma_f64 v[18:19], v[18:19], s[0:1], v[16:17]
	v_add_f64 v[22:23], v[58:59], v[26:27]
	v_add_f64 v[20:21], v[8:9], v[10:11]
	v_add_f64 v[8:9], v[8:9], -v[10:11]
	v_add_f64 v[32:33], v[14:15], v[24:25]
	v_add_f64 v[16:17], v[14:15], -v[24:25]
	v_add_f64 v[24:25], v[36:37], v[44:45]
	v_add_f64 v[34:35], v[12:13], v[18:19]
	v_add_f64 v[18:19], v[12:13], -v[18:19]
	ds_read_b128 v[12:15], v238 offset:960
	v_add_f64 v[10:11], v[58:59], -v[26:27]
	s_waitcnt lgkmcnt(0)
	v_fma_f64 v[56:57], v[24:25], -0.5, v[12:13]
	v_add_f64 v[24:25], v[38:39], v[46:47]
	v_add_f64 v[12:13], v[12:13], v[36:37]
	v_add_f64 v[36:37], v[36:37], -v[44:45]
	v_fma_f64 v[58:59], v[24:25], -0.5, v[14:15]
	v_add_f64 v[24:25], v[28:29], v[40:41]
	v_add_f64 v[12:13], v[12:13], v[44:45]
	v_add_f64 v[14:15], v[14:15], v[38:39]
	v_add_f64 v[38:39], v[38:39], -v[46:47]
	v_add_f64 v[80:81], v[24:25], v[48:49]
	v_add_f64 v[24:25], v[30:31], v[42:43]
	v_add_f64 v[14:15], v[14:15], v[46:47]
	v_add_f64 v[82:83], v[24:25], v[50:51]
	v_add_f64 v[24:25], v[12:13], v[80:81]
	v_add_f64 v[12:13], v[12:13], -v[80:81]
	v_add_f64 v[80:81], v[42:43], v[50:51]
	v_add_f64 v[42:43], v[42:43], -v[50:51]
	v_add_f64 v[26:27], v[14:15], v[82:83]
	v_add_f64 v[14:15], v[14:15], -v[82:83]
	v_fma_f64 v[82:83], v[36:37], s[0:1], v[58:59]
	v_fma_f64 v[80:81], v[80:81], -0.5, v[30:31]
	v_add_f64 v[30:31], v[40:41], v[48:49]
	v_add_f64 v[40:41], v[40:41], -v[48:49]
	v_fma_f64 v[36:37], v[36:37], s[2:3], v[58:59]
	v_fma_f64 v[48:49], v[30:31], -0.5, v[28:29]
	v_fma_f64 v[28:29], v[40:41], s[0:1], v[80:81]
	v_fma_f64 v[40:41], v[40:41], s[2:3], v[80:81]
	v_fma_f64 v[44:45], v[42:43], s[2:3], v[48:49]
	v_mul_f64 v[30:31], v[28:29], s[2:3]
	v_mul_f64 v[28:29], v[28:29], 0.5
	v_fma_f64 v[42:43], v[42:43], s[0:1], v[48:49]
	v_mul_f64 v[48:49], v[40:41], s[2:3]
	v_mul_f64 v[40:41], v[40:41], -0.5
	v_fma_f64 v[30:31], v[44:45], 0.5, v[30:31]
	v_fma_f64 v[50:51], v[44:45], s[0:1], v[28:29]
	v_fma_f64 v[28:29], v[38:39], s[2:3], v[56:57]
	v_fma_f64 v[38:39], v[38:39], s[0:1], v[56:57]
	v_fma_f64 v[48:49], v[42:43], -0.5, v[48:49]
	v_fma_f64 v[42:43], v[42:43], s[0:1], v[40:41]
	v_add_f64 v[46:47], v[82:83], v[50:51]
	v_add_f64 v[44:45], v[28:29], v[30:31]
	v_add_f64 v[28:29], v[28:29], -v[30:31]
	v_add_f64 v[56:57], v[38:39], v[48:49]
	v_add_f64 v[40:41], v[38:39], -v[48:49]
	v_add_f64 v[48:49], v[60:61], v[68:69]
	v_add_f64 v[58:59], v[36:37], v[42:43]
	v_add_f64 v[42:43], v[36:37], -v[42:43]
	ds_read_b128 v[36:39], v238 offset:1920
	v_add_f64 v[30:31], v[82:83], -v[50:51]
	;; [unrolled: 50-line block ×4, first 2 shown]
	s_waitcnt lgkmcnt(0)
	v_fma_f64 v[144:145], v[96:97], -0.5, v[84:85]
	v_add_f64 v[96:97], v[110:111], v[118:119]
	v_add_f64 v[84:85], v[84:85], v[108:109]
	v_add_f64 v[108:109], v[108:109], -v[116:117]
	v_fma_f64 v[146:147], v[96:97], -0.5, v[86:87]
	v_add_f64 v[96:97], v[100:101], v[112:113]
	v_add_f64 v[84:85], v[84:85], v[116:117]
	;; [unrolled: 1-line block ×3, first 2 shown]
	v_add_f64 v[110:111], v[110:111], -v[118:119]
	v_add_f64 v[148:149], v[96:97], v[140:141]
	v_add_f64 v[96:97], v[102:103], v[114:115]
	;; [unrolled: 1-line block ×3, first 2 shown]
	v_add_f64 v[118:119], v[114:115], -v[142:143]
	v_add_f64 v[150:151], v[96:97], v[142:143]
	v_add_f64 v[96:97], v[84:85], v[148:149]
	v_add_f64 v[84:85], v[84:85], -v[148:149]
	v_add_f64 v[148:149], v[114:115], v[142:143]
	v_add_f64 v[98:99], v[86:87], v[150:151]
	v_add_f64 v[86:87], v[86:87], -v[150:151]
	v_fma_f64 v[150:151], v[108:109], s[0:1], v[146:147]
	v_fma_f64 v[148:149], v[148:149], -0.5, v[102:103]
	v_add_f64 v[102:103], v[112:113], v[140:141]
	v_add_f64 v[140:141], v[112:113], -v[140:141]
	v_fma_f64 v[116:117], v[102:103], -0.5, v[100:101]
	v_fma_f64 v[100:101], v[140:141], s[0:1], v[148:149]
	v_fma_f64 v[140:141], v[140:141], s[2:3], v[148:149]
	;; [unrolled: 1-line block ×3, first 2 shown]
	v_mul_f64 v[102:103], v[100:101], s[2:3]
	v_mul_f64 v[100:101], v[100:101], 0.5
	v_fma_f64 v[102:103], v[112:113], 0.5, v[102:103]
	v_fma_f64 v[142:143], v[112:113], s[0:1], v[100:101]
	v_fma_f64 v[100:101], v[110:111], s[2:3], v[144:145]
	;; [unrolled: 1-line block ×3, first 2 shown]
	v_add_f64 v[114:115], v[150:151], v[142:143]
	v_add_f64 v[112:113], v[100:101], v[102:103]
	v_add_f64 v[100:101], v[100:101], -v[102:103]
	v_add_f64 v[102:103], v[150:151], -v[142:143]
	v_fma_f64 v[142:143], v[108:109], s[2:3], v[146:147]
	v_fma_f64 v[108:109], v[118:119], s[0:1], v[116:117]
	v_mul_f64 v[116:117], v[140:141], s[2:3]
	v_mul_f64 v[118:119], v[140:141], -0.5
	v_fma_f64 v[140:141], v[108:109], -0.5, v[116:117]
	v_fma_f64 v[144:145], v[108:109], s[0:1], v[118:119]
	v_add_f64 v[116:117], v[110:111], v[140:141]
	v_add_f64 v[108:109], v[110:111], -v[140:141]
	v_add_f64 v[140:141], v[122:123], v[132:133]
	v_add_f64 v[118:119], v[142:143], v[144:145]
	v_add_f64 v[110:111], v[142:143], -v[144:145]
	ds_read_b128 v[142:145], v238 offset:4800
	s_waitcnt lgkmcnt(0)
	v_fma_f64 v[148:149], v[140:141], -0.5, v[142:143]
	v_add_f64 v[140:141], v[126:127], v[134:135]
	v_fma_f64 v[150:151], v[140:141], -0.5, v[144:145]
	v_add_f64 v[140:141], v[142:143], v[122:123]
	v_add_f64 v[142:143], v[144:145], v[126:127]
	;; [unrolled: 1-line block ×5, first 2 shown]
	v_add_f64 v[134:135], v[126:127], -v[134:135]
	v_add_f64 v[132:133], v[122:123], -v[132:133]
	v_add_f64 v[152:153], v[140:141], v[138:139]
	v_add_f64 v[140:141], v[124:125], v[128:129]
	;; [unrolled: 1-line block ×4, first 2 shown]
	v_add_f64 v[144:145], v[144:145], -v[152:153]
	v_add_f64 v[152:153], v[128:129], v[136:137]
	v_add_f64 v[128:129], v[128:129], -v[136:137]
	v_add_f64 v[142:143], v[146:147], v[154:155]
	v_add_f64 v[146:147], v[146:147], -v[154:155]
	v_fma_f64 v[154:155], v[132:133], s[0:1], v[150:151]
	v_fma_f64 v[152:153], v[152:153], -0.5, v[124:125]
	v_add_f64 v[124:125], v[130:131], v[138:139]
	v_add_f64 v[130:131], v[130:131], -v[138:139]
	v_fma_f64 v[138:139], v[124:125], -0.5, v[120:121]
	v_fma_f64 v[120:121], v[130:131], s[0:1], v[152:153]
	v_fma_f64 v[130:131], v[130:131], s[2:3], v[152:153]
	v_fma_f64 v[124:125], v[128:129], s[2:3], v[138:139]
	v_mul_f64 v[122:123], v[120:121], s[2:3]
	v_mul_f64 v[120:121], v[120:121], 0.5
	v_fma_f64 v[128:129], v[128:129], s[0:1], v[138:139]
	v_fma_f64 v[126:127], v[124:125], 0.5, v[122:123]
	v_fma_f64 v[136:137], v[124:125], s[0:1], v[120:121]
	v_fma_f64 v[124:125], v[134:135], s[2:3], v[148:149]
	;; [unrolled: 1-line block ×3, first 2 shown]
	v_add_f64 v[122:123], v[154:155], v[136:137]
	v_add_f64 v[120:121], v[124:125], v[126:127]
	v_add_f64 v[124:125], v[124:125], -v[126:127]
	v_add_f64 v[126:127], v[154:155], -v[136:137]
	v_fma_f64 v[136:137], v[132:133], s[2:3], v[150:151]
	v_mul_f64 v[132:133], v[130:131], s[2:3]
	v_mul_f64 v[130:131], v[130:131], -0.5
	s_mov_b32 s2, 0xc901e574
	s_mov_b32 s3, 0x3f3e573a
	v_fma_f64 v[132:133], v[128:129], -0.5, v[132:133]
	v_fma_f64 v[138:139], v[128:129], s[0:1], v[130:131]
	s_mul_hi_u32 s1, s8, 0xd8
	v_add_f64 v[128:129], v[134:135], v[132:133]
	v_add_f64 v[130:131], v[136:137], v[138:139]
	v_add_f64 v[132:133], v[134:135], -v[132:133]
	v_add_f64 v[134:135], v[136:137], -v[138:139]
	ds_write_b128 v238, v[4:7]
	ds_write_b128 v238, v[20:23] offset:5760
	ds_write_b128 v238, v[32:35] offset:11520
	;; [unrolled: 1-line block ×35, first 2 shown]
	s_waitcnt lgkmcnt(0)
	s_barrier
	buffer_gl0_inv
	ds_read_b128 v[0:3], v238
	s_clause 0x3
	buffer_load_dword v16, off, s[24:27], 0 offset:628
	buffer_load_dword v17, off, s[24:27], 0 offset:632
	;; [unrolled: 1-line block ×4, first 2 shown]
	ds_read_b128 v[4:7], v238 offset:3456
	s_clause 0x2
	buffer_load_dword v24, off, s[24:27], 0 offset:68
	buffer_load_dword v25, off, s[24:27], 0 offset:72
	buffer_load_dword v30, off, s[24:27], 0
	s_waitcnt vmcnt(3) lgkmcnt(1)
	v_mul_f64 v[8:9], v[18:19], v[2:3]
	v_mul_f64 v[14:15], v[18:19], v[0:1]
	s_waitcnt vmcnt(2)
	v_mad_u64_u32 v[10:11], null, s10, v24, 0
	s_mul_i32 s10, s9, 0x1b00
	v_fma_f64 v[12:13], v[16:17], v[0:1], v[8:9]
	v_fma_f64 v[14:15], v[16:17], v[2:3], -v[14:15]
	ds_read_b128 v[0:3], v238 offset:6912
	ds_read_b128 v[16:19], v238 offset:33024
	;; [unrolled: 1-line block ×3, first 2 shown]
	s_clause 0x3
	buffer_load_dword v54, off, s[24:27], 0 offset:484
	buffer_load_dword v55, off, s[24:27], 0 offset:488
	;; [unrolled: 1-line block ×4, first 2 shown]
	s_waitcnt vmcnt(4)
	v_mad_u64_u32 v[8:9], null, s8, v30, 0
	v_mad_u64_u32 v[28:29], null, s11, v24, v[11:12]
	;; [unrolled: 1-line block ×3, first 2 shown]
	ds_read_b128 v[24:27], v238 offset:4416
	v_mul_f64 v[12:13], v[12:13], s[2:3]
	v_mul_f64 v[14:15], v[14:15], s[2:3]
	v_mov_b32_e32 v11, v28
	v_mov_b32_e32 v9, v29
	ds_read_b128 v[28:31], v238 offset:5376
	v_lshlrev_b64 v[10:11], 4, v[10:11]
	v_lshlrev_b64 v[52:53], 4, v[8:9]
	v_add_co_u32 v104, s0, s6, v10
	v_add_co_ci_u32_e64 v105, s0, s7, v11, s0
	v_add_co_u32 v60, s0, v104, v52
	v_add_co_ci_u32_e64 v61, s0, v105, v53, s0
	s_mul_i32 s0, s9, 0xd8
	s_add_i32 s1, s1, s0
	s_mul_i32 s0, s8, 0xd8
	s_lshl_b64 s[4:5], s[0:1], 4
	s_mul_i32 s1, s9, 0xfffff8a4
	v_add_co_u32 v76, s0, v60, s4
	v_add_co_ci_u32_e64 v77, s0, s5, v61, s0
	s_waitcnt vmcnt(0) lgkmcnt(5)
	v_mul_f64 v[36:37], v[56:57], v[6:7]
	v_mul_f64 v[40:41], v[56:57], v[4:5]
	s_clause 0x3
	buffer_load_dword v56, off, s[24:27], 0 offset:452
	buffer_load_dword v57, off, s[24:27], 0 offset:456
	;; [unrolled: 1-line block ×4, first 2 shown]
	ds_read_b128 v[32:35], v238 offset:11328
	s_clause 0x3
	buffer_load_dword v62, off, s[24:27], 0 offset:436
	buffer_load_dword v63, off, s[24:27], 0 offset:440
	;; [unrolled: 1-line block ×4, first 2 shown]
	ds_read_b128 v[8:11], v238 offset:17280
	v_fma_f64 v[50:51], v[54:55], v[4:5], v[36:37]
	ds_read_b128 v[36:39], v238 offset:13824
	v_fma_f64 v[54:55], v[54:55], v[6:7], -v[40:41]
	ds_read_b128 v[4:7], v238 offset:20736
	s_waitcnt vmcnt(4) lgkmcnt(8)
	v_mul_f64 v[42:43], v[58:59], v[2:3]
	v_mul_f64 v[44:45], v[58:59], v[0:1]
	s_waitcnt vmcnt(0) lgkmcnt(6)
	v_mul_f64 v[46:47], v[64:65], v[22:23]
	v_mul_f64 v[48:49], v[64:65], v[20:21]
	v_fma_f64 v[52:53], v[56:57], v[0:1], v[42:43]
	v_fma_f64 v[56:57], v[56:57], v[2:3], -v[44:45]
	ds_read_b128 v[0:3], v238 offset:12288
	s_clause 0x3
	buffer_load_dword v84, off, s[24:27], 0 offset:308
	buffer_load_dword v85, off, s[24:27], 0 offset:312
	;; [unrolled: 1-line block ×4, first 2 shown]
	ds_read_b128 v[40:43], v238 offset:18240
	s_clause 0x3
	buffer_load_dword v78, off, s[24:27], 0 offset:276
	buffer_load_dword v79, off, s[24:27], 0 offset:280
	;; [unrolled: 1-line block ×4, first 2 shown]
	v_fma_f64 v[58:59], v[62:63], v[20:21], v[46:47]
	ds_read_b128 v[44:47], v238 offset:19200
	v_fma_f64 v[62:63], v[62:63], v[22:23], -v[48:49]
	v_mul_f64 v[20:21], v[50:51], s[2:3]
	v_mul_f64 v[22:23], v[54:55], s[2:3]
	;; [unrolled: 1-line block ×6, first 2 shown]
	s_waitcnt vmcnt(4) lgkmcnt(4)
	v_mul_f64 v[64:65], v[86:87], v[38:39]
	v_mul_f64 v[66:67], v[86:87], v[36:37]
	s_waitcnt vmcnt(0)
	v_mul_f64 v[68:69], v[80:81], v[10:11]
	v_mul_f64 v[70:71], v[80:81], v[8:9]
	s_clause 0x3
	buffer_load_dword v80, off, s[24:27], 0 offset:292
	buffer_load_dword v81, off, s[24:27], 0 offset:296
	;; [unrolled: 1-line block ×4, first 2 shown]
	ds_read_b128 v[48:51], v238 offset:24192
	v_fma_f64 v[62:63], v[84:85], v[36:37], v[64:65]
	v_fma_f64 v[64:65], v[84:85], v[38:39], -v[66:67]
	ds_read_b128 v[36:39], v238 offset:27648
	v_add_co_u32 v66, s0, v76, s4
	v_add_co_ci_u32_e64 v67, s0, s5, v77, s0
	v_fma_f64 v[68:69], v[78:79], v[8:9], v[68:69]
	v_fma_f64 v[70:71], v[78:79], v[10:11], -v[70:71]
	s_waitcnt vmcnt(0) lgkmcnt(5)
	v_mul_f64 v[72:73], v[82:83], v[6:7]
	v_mul_f64 v[74:75], v[82:83], v[4:5]
	v_add_co_u32 v82, s0, v66, s4
	v_add_co_ci_u32_e64 v83, s0, s5, v67, s0
	v_fma_f64 v[72:73], v[80:81], v[4:5], v[72:73]
	v_fma_f64 v[74:75], v[80:81], v[6:7], -v[74:75]
	ds_read_b128 v[4:7], v238 offset:25152
	s_clause 0x3
	buffer_load_dword v86, off, s[24:27], 0 offset:468
	buffer_load_dword v87, off, s[24:27], 0 offset:472
	;; [unrolled: 1-line block ×4, first 2 shown]
	global_store_dwordx4 v[60:61], v[12:15], off
	global_store_dwordx4 v[76:77], v[20:23], off
	ds_read_b128 v[8:11], v238 offset:31104
	global_store_dwordx4 v[66:67], v[52:55], off
	global_store_dwordx4 v[82:83], v[56:59], off
	ds_read_b128 v[20:23], v238 offset:960
	ds_read_b128 v[52:55], v238 offset:26112
	v_mul_f64 v[14:15], v[64:65], s[2:3]
	v_mul_f64 v[56:57], v[68:69], s[2:3]
	v_mul_f64 v[58:59], v[70:71], s[2:3]
	v_mul_f64 v[12:13], v[62:63], s[2:3]
	v_add_co_u32 v82, s0, v82, s4
	v_add_co_ci_u32_e64 v83, s0, s5, v83, s0
	v_mul_f64 v[60:61], v[72:73], s[2:3]
	v_mul_f64 v[62:63], v[74:75], s[2:3]
	s_waitcnt vmcnt(0) lgkmcnt(5)
	v_mul_f64 v[78:79], v[88:89], v[50:51]
	v_mul_f64 v[80:81], v[88:89], v[48:49]
	s_clause 0x3
	buffer_load_dword v88, off, s[24:27], 0 offset:420
	buffer_load_dword v89, off, s[24:27], 0 offset:424
	;; [unrolled: 1-line block ×4, first 2 shown]
	v_fma_f64 v[68:69], v[86:87], v[48:49], v[78:79]
	v_fma_f64 v[70:71], v[86:87], v[50:51], -v[80:81]
	ds_read_b128 v[48:51], v238 offset:32064
	s_clause 0x3
	buffer_load_dword v95, off, s[24:27], 0 offset:516
	buffer_load_dword v96, off, s[24:27], 0 offset:520
	;; [unrolled: 1-line block ×4, first 2 shown]
	ds_read_b128 v[64:67], v238 offset:1920
	v_add_co_u32 v86, s0, v82, s4
	v_add_co_ci_u32_e64 v87, s0, s5, v83, s0
	s_waitcnt vmcnt(4) lgkmcnt(6)
	v_mul_f64 v[76:77], v[90:91], v[38:39]
	v_mul_f64 v[84:85], v[90:91], v[36:37]
	s_clause 0x4
	buffer_load_dword v90, off, s[24:27], 0 offset:116
	buffer_load_dword v91, off, s[24:27], 0 offset:500
	;; [unrolled: 1-line block ×5, first 2 shown]
	global_store_dwordx4 v[82:83], v[12:15], off
	global_store_dwordx4 v[86:87], v[56:59], off
	ds_read_b128 v[12:15], v238 offset:7872
	v_fma_f64 v[36:37], v[88:89], v[36:37], v[76:77]
	s_waitcnt vmcnt(5) lgkmcnt(5)
	v_mul_f64 v[72:73], v[97:98], v[10:11]
	v_mul_f64 v[74:75], v[97:98], v[8:9]
	v_fma_f64 v[38:39], v[88:89], v[38:39], -v[84:85]
	v_add_co_u32 v88, s0, v86, s4
	v_add_co_ci_u32_e64 v89, s0, s5, v87, s0
	global_store_dwordx4 v[88:89], v[60:63], off
	v_fma_f64 v[56:57], v[95:96], v[8:9], v[72:73]
	v_fma_f64 v[60:61], v[95:96], v[10:11], -v[74:75]
	v_mul_f64 v[8:9], v[68:69], s[2:3]
	v_mul_f64 v[10:11], v[70:71], s[2:3]
	s_waitcnt vmcnt(4)
	v_mad_u64_u32 v[78:79], null, s8, v90, 0
	s_waitcnt vmcnt(0) lgkmcnt(4)
	v_mul_f64 v[80:81], v[93:94], v[22:23]
	v_mul_f64 v[84:85], v[93:94], v[20:21]
	v_mov_b32_e32 v76, v79
	v_mad_u64_u32 v[76:77], null, s9, v90, v[76:77]
	v_mov_b32_e32 v79, v76
	v_add_co_u32 v76, s0, v88, s4
	v_fma_f64 v[68:69], v[91:92], v[20:21], v[80:81]
	v_fma_f64 v[70:71], v[91:92], v[22:23], -v[84:85]
	s_clause 0x3
	buffer_load_dword v92, off, s[24:27], 0 offset:404
	buffer_load_dword v93, off, s[24:27], 0 offset:408
	;; [unrolled: 1-line block ×4, first 2 shown]
	v_lshlrev_b64 v[58:59], 4, v[78:79]
	v_add_co_ci_u32_e64 v77, s0, s5, v89, s0
	v_mul_f64 v[20:21], v[36:37], s[2:3]
	v_mul_f64 v[22:23], v[38:39], s[2:3]
	;; [unrolled: 1-line block ×3, first 2 shown]
	v_add_co_u32 v78, s0, v104, v58
	v_add_co_ci_u32_e64 v79, s0, v105, v59, s0
	ds_read_b128 v[56:59], v238 offset:14784
	v_mul_f64 v[38:39], v[60:61], s[2:3]
	ds_read_b128 v[60:63], v238 offset:8832
	s_clause 0x7
	buffer_load_dword v114, off, s[24:27], 0 offset:388
	buffer_load_dword v115, off, s[24:27], 0 offset:392
	;; [unrolled: 1-line block ×8, first 2 shown]
	v_mad_u64_u32 v[82:83], null, 0x1b00, s8, v[76:77]
	s_mul_hi_u32 s0, s8, 0xfffff8a4
	v_mul_f64 v[68:69], v[68:69], s[2:3]
	v_mul_f64 v[70:71], v[70:71], s[2:3]
	s_sub_i32 s0, s0, s8
	s_add_i32 s1, s0, s1
	s_mul_i32 s0, s8, 0xfffff8a4
	v_add_nc_u32_e32 v83, s10, v83
	s_lshl_b64 s[6:7], s[0:1], 4
	v_add_co_u32 v102, s0, v82, s6
	v_add_co_ci_u32_e64 v103, s0, s7, v83, s0
	s_waitcnt vmcnt(8)
	v_mul_f64 v[72:73], v[94:95], v[26:27]
	v_mul_f64 v[74:75], v[94:95], v[24:25]
	s_waitcnt vmcnt(4) lgkmcnt(2)
	v_mul_f64 v[80:81], v[116:117], v[14:15]
	s_waitcnt vmcnt(0)
	v_mul_f64 v[88:89], v[108:109], v[34:35]
	v_mul_f64 v[90:91], v[108:109], v[32:33]
	;; [unrolled: 1-line block ×3, first 2 shown]
	v_fma_f64 v[86:87], v[92:93], v[24:25], v[72:73]
	v_fma_f64 v[92:93], v[92:93], v[26:27], -v[74:75]
	ds_read_b128 v[24:27], v238 offset:15744
	s_clause 0x3
	buffer_load_dword v108, off, s[24:27], 0 offset:356
	buffer_load_dword v109, off, s[24:27], 0 offset:360
	;; [unrolled: 1-line block ×4, first 2 shown]
	v_fma_f64 v[80:81], v[114:115], v[12:13], v[80:81]
	v_fma_f64 v[84:85], v[114:115], v[14:15], -v[84:85]
	s_waitcnt vmcnt(0) lgkmcnt(2)
	v_mul_f64 v[94:95], v[110:111], v[58:59]
	v_mul_f64 v[96:97], v[110:111], v[56:57]
	s_clause 0x3
	buffer_load_dword v110, off, s[24:27], 0 offset:372
	buffer_load_dword v111, off, s[24:27], 0 offset:376
	;; [unrolled: 1-line block ×4, first 2 shown]
	ds_read_b128 v[72:75], v238 offset:21696
	global_store_dwordx4 v[76:77], v[8:11], off
	global_store_dwordx4 v[78:79], v[20:23], off
	;; [unrolled: 1-line block ×4, first 2 shown]
	ds_read_b128 v[12:15], v238 offset:22656
	v_add_co_u32 v78, s0, v102, s4
	v_fma_f64 v[36:37], v[106:107], v[32:33], v[88:89]
	v_fma_f64 v[38:39], v[106:107], v[34:35], -v[90:91]
	v_add_co_ci_u32_e64 v79, s0, s5, v103, s0
	v_mul_f64 v[20:21], v[80:81], s[2:3]
	v_mul_f64 v[10:11], v[92:93], s[2:3]
	;; [unrolled: 1-line block ×4, first 2 shown]
	v_add_co_u32 v82, s0, v78, s4
	v_add_co_ci_u32_e64 v83, s0, s5, v79, s0
	v_add_co_u32 v84, s0, v82, s4
	v_fma_f64 v[56:57], v[108:109], v[56:57], v[94:95]
	v_fma_f64 v[58:59], v[108:109], v[58:59], -v[96:97]
	v_add_co_ci_u32_e64 v85, s0, s5, v83, s0
	v_mul_f64 v[36:37], v[36:37], s[2:3]
	v_mul_f64 v[38:39], v[38:39], s[2:3]
	s_waitcnt vmcnt(0)
	v_mul_f64 v[98:99], v[112:113], v[42:43]
	v_mul_f64 v[100:101], v[112:113], v[40:41]
	v_fma_f64 v[68:69], v[110:111], v[40:41], v[98:99]
	v_fma_f64 v[70:71], v[110:111], v[42:43], -v[100:101]
	s_clause 0x3
	buffer_load_dword v110, off, s[24:27], 0 offset:228
	buffer_load_dword v111, off, s[24:27], 0 offset:232
	;; [unrolled: 1-line block ×4, first 2 shown]
	ds_read_b128 v[32:35], v238 offset:28608
	v_mul_f64 v[40:41], v[56:57], s[2:3]
	v_mul_f64 v[42:43], v[58:59], s[2:3]
	s_clause 0x3
	buffer_load_dword v100, off, s[24:27], 0 offset:196
	buffer_load_dword v101, off, s[24:27], 0 offset:200
	;; [unrolled: 1-line block ×4, first 2 shown]
	v_mul_f64 v[56:57], v[68:69], s[2:3]
	v_mul_f64 v[58:59], v[70:71], s[2:3]
	ds_read_b128 v[68:71], v238 offset:29568
	s_clause 0x3
	buffer_load_dword v106, off, s[24:27], 0 offset:212
	buffer_load_dword v107, off, s[24:27], 0 offset:216
	;; [unrolled: 1-line block ×4, first 2 shown]
	s_waitcnt vmcnt(8) lgkmcnt(3)
	v_mul_f64 v[76:77], v[112:113], v[74:75]
	v_mul_f64 v[80:81], v[112:113], v[72:73]
	s_clause 0x3
	buffer_load_dword v112, off, s[24:27], 0 offset:244
	buffer_load_dword v113, off, s[24:27], 0 offset:248
	;; [unrolled: 1-line block ×4, first 2 shown]
	s_waitcnt vmcnt(8)
	v_mul_f64 v[86:87], v[102:103], v[6:7]
	v_mul_f64 v[88:89], v[102:103], v[4:5]
	v_fma_f64 v[72:73], v[110:111], v[72:73], v[76:77]
	v_fma_f64 v[74:75], v[110:111], v[74:75], -v[80:81]
	v_add_co_u32 v80, s0, v84, s4
	v_add_co_ci_u32_e64 v81, s0, s5, v85, s0
	s_waitcnt vmcnt(4) lgkmcnt(1)
	v_mul_f64 v[76:77], v[108:109], v[34:35]
	v_mul_f64 v[90:91], v[108:109], v[32:33]
	s_waitcnt vmcnt(0)
	v_mul_f64 v[92:93], v[114:115], v[50:51]
	v_mul_f64 v[94:95], v[114:115], v[48:49]
	s_clause 0x3
	buffer_load_dword v114, off, s[24:27], 0 offset:260
	buffer_load_dword v115, off, s[24:27], 0 offset:264
	;; [unrolled: 1-line block ×4, first 2 shown]
	global_store_dwordx4 v[78:79], v[8:11], off
	v_add_co_u32 v8, s0, v80, s4
	v_add_co_ci_u32_e64 v9, s0, s5, v81, s0
	global_store_dwordx4 v[82:83], v[20:23], off
	global_store_dwordx4 v[84:85], v[36:39], off
	global_store_dwordx4 v[80:81], v[40:43], off
	global_store_dwordx4 v[8:9], v[56:59], off
	v_fma_f64 v[10:11], v[100:101], v[4:5], v[86:87]
	v_fma_f64 v[78:79], v[100:101], v[6:7], -v[88:89]
	v_mul_f64 v[4:5], v[72:73], s[2:3]
	v_mul_f64 v[6:7], v[74:75], s[2:3]
	v_fma_f64 v[20:21], v[106:107], v[32:33], v[76:77]
	v_fma_f64 v[22:23], v[106:107], v[34:35], -v[90:91]
	v_add_co_u32 v56, s0, v8, s4
	v_add_co_ci_u32_e64 v57, s0, s5, v9, s0
	v_add_co_u32 v58, s0, v56, s4
	v_fma_f64 v[32:33], v[112:113], v[48:49], v[92:93]
	v_fma_f64 v[34:35], v[112:113], v[50:51], -v[94:95]
	v_add_co_ci_u32_e64 v59, s0, s5, v57, s0
	v_mul_f64 v[8:9], v[10:11], s[2:3]
	v_mul_f64 v[10:11], v[78:79], s[2:3]
	;; [unrolled: 1-line block ×6, first 2 shown]
	s_waitcnt vmcnt(0)
	v_mul_f64 v[96:97], v[116:117], v[66:67]
	v_mul_f64 v[98:99], v[116:117], v[64:65]
	v_fma_f64 v[36:37], v[114:115], v[64:65], v[96:97]
	v_fma_f64 v[38:39], v[114:115], v[66:67], -v[98:99]
	s_clause 0x7
	buffer_load_dword v64, off, s[24:27], 0 offset:180
	buffer_load_dword v65, off, s[24:27], 0 offset:184
	;; [unrolled: 1-line block ×8, first 2 shown]
	v_mul_f64 v[36:37], v[36:37], s[2:3]
	v_mul_f64 v[38:39], v[38:39], s[2:3]
	s_waitcnt vmcnt(4)
	v_mul_f64 v[40:41], v[66:67], v[30:31]
	v_mul_f64 v[42:43], v[66:67], v[28:29]
	s_waitcnt vmcnt(0)
	v_mul_f64 v[48:49], v[74:75], v[62:63]
	v_mul_f64 v[50:51], v[74:75], v[60:61]
	v_fma_f64 v[28:29], v[64:65], v[28:29], v[40:41]
	v_add_co_u32 v40, s0, v58, s4
	v_add_co_ci_u32_e64 v41, s0, s5, v59, s0
	v_fma_f64 v[30:31], v[64:65], v[30:31], -v[42:43]
	v_fma_f64 v[42:43], v[72:73], v[60:61], v[48:49]
	v_add_co_u32 v60, s0, v40, s4
	v_add_co_ci_u32_e64 v61, s0, s5, v41, s0
	v_fma_f64 v[48:49], v[72:73], v[62:63], -v[50:51]
	v_add_co_u32 v64, s0, v60, s6
	v_add_co_ci_u32_e64 v65, s0, s7, v61, s0
	s_clause 0x3
	buffer_load_dword v72, off, s[24:27], 0 offset:164
	buffer_load_dword v73, off, s[24:27], 0 offset:168
	;; [unrolled: 1-line block ×4, first 2 shown]
	global_store_dwordx4 v[56:57], v[4:7], off
	global_store_dwordx4 v[58:59], v[8:11], off
	;; [unrolled: 1-line block ×5, first 2 shown]
	s_clause 0x3
	buffer_load_dword v76, off, s[24:27], 0 offset:532
	buffer_load_dword v77, off, s[24:27], 0 offset:536
	;; [unrolled: 1-line block ×4, first 2 shown]
	v_add_co_u32 v20, s0, v64, s4
	v_add_co_ci_u32_e64 v21, s0, s5, v65, s0
	v_mul_f64 v[4:5], v[28:29], s[2:3]
	v_add_co_u32 v40, s0, v20, s4
	v_add_co_ci_u32_e64 v41, s0, s5, v21, s0
	v_mul_f64 v[6:7], v[30:31], s[2:3]
	v_mul_f64 v[8:9], v[42:43], s[2:3]
	;; [unrolled: 1-line block ×3, first 2 shown]
	s_waitcnt vmcnt(4)
	v_mul_f64 v[50:51], v[74:75], v[2:3]
	v_mul_f64 v[62:63], v[74:75], v[0:1]
	s_waitcnt vmcnt(0)
	v_mul_f64 v[22:23], v[78:79], v[26:27]
	v_mul_f64 v[28:29], v[78:79], v[24:25]
	s_clause 0x4
	buffer_load_dword v78, off, s[24:27], 0 offset:548
	buffer_load_dword v79, off, s[24:27], 0 offset:552
	;; [unrolled: 1-line block ×5, first 2 shown]
	v_fma_f64 v[0:1], v[72:73], v[0:1], v[50:51]
	v_fma_f64 v[2:3], v[72:73], v[2:3], -v[62:63]
	s_clause 0x3
	buffer_load_dword v72, off, s[24:27], 0 offset:324
	buffer_load_dword v73, off, s[24:27], 0 offset:328
	;; [unrolled: 1-line block ×4, first 2 shown]
	v_fma_f64 v[22:23], v[76:77], v[24:25], v[22:23]
	v_fma_f64 v[24:25], v[76:77], v[26:27], -v[28:29]
	v_mul_f64 v[0:1], v[0:1], s[2:3]
	v_mul_f64 v[2:3], v[2:3], s[2:3]
	s_waitcnt vmcnt(5)
	v_mul_f64 v[30:31], v[80:81], v[46:47]
	v_mul_f64 v[32:33], v[80:81], v[44:45]
	s_clause 0x3
	buffer_load_dword v80, off, s[24:27], 0 offset:580
	buffer_load_dword v81, off, s[24:27], 0 offset:584
	;; [unrolled: 1-line block ×4, first 2 shown]
	s_waitcnt vmcnt(8)
	v_mad_u64_u32 v[34:35], null, s8, v64, 0
	s_waitcnt vmcnt(4)
	v_mul_f64 v[36:37], v[74:75], v[14:15]
	v_mul_f64 v[38:39], v[74:75], v[12:13]
	v_mad_u64_u32 v[26:27], null, s9, v64, v[35:36]
	v_fma_f64 v[27:28], v[78:79], v[44:45], v[30:31]
	v_fma_f64 v[29:30], v[78:79], v[46:47], -v[32:33]
	v_fma_f64 v[12:13], v[72:73], v[12:13], v[36:37]
	v_fma_f64 v[14:15], v[72:73], v[14:15], -v[38:39]
	v_mad_u64_u32 v[31:32], null, 0x1b00, s8, v[40:41]
	v_mov_b32_e32 v35, v26
	v_lshlrev_b64 v[33:34], 4, v[34:35]
	v_add_nc_u32_e32 v32, s10, v32
	v_mul_f64 v[12:13], v[12:13], s[2:3]
	v_mul_f64 v[14:15], v[14:15], s[2:3]
	s_waitcnt vmcnt(0)
	v_mul_f64 v[42:43], v[82:83], v[54:55]
	v_mul_f64 v[48:49], v[82:83], v[52:53]
	s_clause 0x3
	buffer_load_dword v82, off, s[24:27], 0 offset:596
	buffer_load_dword v83, off, s[24:27], 0 offset:600
	buffer_load_dword v84, off, s[24:27], 0 offset:604
	buffer_load_dword v85, off, s[24:27], 0 offset:608
	v_fma_f64 v[36:37], v[80:81], v[54:55], -v[48:49]
	s_waitcnt vmcnt(0) lgkmcnt(0)
	v_mul_f64 v[50:51], v[84:85], v[70:71]
	v_mul_f64 v[56:57], v[84:85], v[68:69]
	s_clause 0x3
	buffer_load_dword v84, off, s[24:27], 0 offset:612
	buffer_load_dword v85, off, s[24:27], 0 offset:616
	;; [unrolled: 1-line block ×4, first 2 shown]
	global_store_dwordx4 v[20:21], v[4:7], off
	global_store_dwordx4 v[40:41], v[8:11], off
	v_fma_f64 v[20:21], v[80:81], v[52:53], v[42:43]
	v_mul_f64 v[8:9], v[27:28], s[2:3]
	v_add_co_u32 v28, s0, v31, s4
	v_mul_f64 v[10:11], v[29:30], s[2:3]
	v_add_co_ci_u32_e64 v29, s0, s5, v32, s0
	v_add_co_u32 v46, s0, v28, s4
	v_mul_f64 v[4:5], v[22:23], s[2:3]
	v_mul_f64 v[6:7], v[24:25], s[2:3]
	v_add_co_ci_u32_e64 v47, s0, s5, v29, s0
	v_add_co_u32 v33, s0, v104, v33
	v_add_co_ci_u32_e64 v34, s0, v105, v34, s0
	v_add_co_u32 v35, s0, v46, s4
	v_fma_f64 v[38:39], v[82:83], v[68:69], v[50:51]
	v_fma_f64 v[40:41], v[82:83], v[70:71], -v[56:57]
	global_store_dwordx4 v[33:34], v[0:3], off
	global_store_dwordx4 v[31:32], v[4:7], off
	v_mul_f64 v[22:23], v[40:41], s[2:3]
	s_waitcnt vmcnt(0)
	v_mul_f64 v[58:59], v[86:87], v[18:19]
	v_mul_f64 v[60:61], v[86:87], v[16:17]
	v_fma_f64 v[42:43], v[84:85], v[16:17], v[58:59]
	v_fma_f64 v[44:45], v[84:85], v[18:19], -v[60:61]
	v_mul_f64 v[16:17], v[20:21], s[2:3]
	v_mul_f64 v[18:19], v[36:37], s[2:3]
	;; [unrolled: 1-line block ×3, first 2 shown]
	v_add_co_ci_u32_e64 v36, s0, s5, v47, s0
	v_add_co_u32 v2, s0, v35, s4
	v_add_co_ci_u32_e64 v3, s0, s5, v36, s0
	v_add_co_u32 v0, s0, v2, s4
	v_add_co_ci_u32_e64 v1, s0, s5, v3, s0
	v_mul_f64 v[24:25], v[42:43], s[2:3]
	v_mul_f64 v[26:27], v[44:45], s[2:3]
	global_store_dwordx4 v[28:29], v[8:11], off
	global_store_dwordx4 v[46:47], v[12:15], off
	;; [unrolled: 1-line block ×5, first 2 shown]
	s_and_b32 exec_lo, exec_lo, vcc_lo
	s_cbranch_execz .LBB0_15
; %bb.14:
	s_clause 0x1
	buffer_load_dword v2, off, s[24:27], 0 offset:136
	buffer_load_dword v3, off, s[24:27], 0 offset:140
	s_waitcnt vmcnt(0)
	global_load_dwordx4 v[2:5], v[2:3], off offset:832
	ds_read_b128 v[6:9], v238 offset:2880
	ds_read_b128 v[10:13], v238 offset:33984
	s_waitcnt vmcnt(0) lgkmcnt(1)
	v_mul_f64 v[14:15], v[8:9], v[4:5]
	v_mul_f64 v[4:5], v[6:7], v[4:5]
	v_fma_f64 v[6:7], v[6:7], v[2:3], v[14:15]
	v_fma_f64 v[4:5], v[2:3], v[8:9], -v[4:5]
	v_add_co_u32 v8, vcc_lo, v0, s6
	v_add_co_ci_u32_e32 v9, vcc_lo, s7, v1, vcc_lo
	v_mul_f64 v[2:3], v[6:7], s[2:3]
	v_mul_f64 v[4:5], v[4:5], s[2:3]
	global_store_dwordx4 v[8:9], v[2:5], off
	s_clause 0x1
	buffer_load_dword v0, off, s[24:27], 0 offset:92
	buffer_load_dword v1, off, s[24:27], 0 offset:96
	s_waitcnt vmcnt(0)
	global_load_dwordx4 v[0:3], v[0:1], off offset:192
	ds_read_b128 v[4:7], v238 offset:6336
	ds_read_b128 v[14:17], v238 offset:9792
	s_waitcnt vmcnt(0) lgkmcnt(1)
	v_mul_f64 v[18:19], v[6:7], v[2:3]
	v_mul_f64 v[2:3], v[4:5], v[2:3]
	v_fma_f64 v[4:5], v[4:5], v[0:1], v[18:19]
	v_fma_f64 v[2:3], v[0:1], v[6:7], -v[2:3]
	v_mul_f64 v[0:1], v[4:5], s[2:3]
	v_mul_f64 v[2:3], v[2:3], s[2:3]
	v_add_co_u32 v4, vcc_lo, v8, s4
	v_add_co_ci_u32_e32 v5, vcc_lo, s5, v9, vcc_lo
	v_add_co_u32 v8, vcc_lo, v4, s4
	v_add_co_ci_u32_e32 v9, vcc_lo, s5, v5, vcc_lo
	global_store_dwordx4 v[4:5], v[0:3], off
	s_clause 0x1
	buffer_load_dword v0, off, s[24:27], 0 offset:120
	buffer_load_dword v1, off, s[24:27], 0 offset:124
	s_waitcnt vmcnt(0)
	global_load_dwordx4 v[0:3], v[0:1], off offset:1600
	s_waitcnt vmcnt(0) lgkmcnt(0)
	v_mul_f64 v[6:7], v[16:17], v[2:3]
	v_mul_f64 v[2:3], v[14:15], v[2:3]
	v_fma_f64 v[6:7], v[14:15], v[0:1], v[6:7]
	v_fma_f64 v[2:3], v[0:1], v[16:17], -v[2:3]
	v_mul_f64 v[0:1], v[6:7], s[2:3]
	v_mul_f64 v[2:3], v[2:3], s[2:3]
	global_store_dwordx4 v[8:9], v[0:3], off
	s_clause 0x1
	buffer_load_dword v0, off, s[24:27], 0 offset:84
	buffer_load_dword v1, off, s[24:27], 0 offset:88
	s_waitcnt vmcnt(0)
	global_load_dwordx4 v[0:3], v[0:1], off offset:960
	ds_read_b128 v[4:7], v238 offset:13248
	ds_read_b128 v[14:17], v238 offset:16704
	s_waitcnt vmcnt(0) lgkmcnt(1)
	v_mul_f64 v[18:19], v[6:7], v[2:3]
	v_mul_f64 v[2:3], v[4:5], v[2:3]
	v_fma_f64 v[4:5], v[4:5], v[0:1], v[18:19]
	v_fma_f64 v[2:3], v[0:1], v[6:7], -v[2:3]
	v_mul_f64 v[0:1], v[4:5], s[2:3]
	v_mul_f64 v[2:3], v[2:3], s[2:3]
	v_add_co_u32 v4, vcc_lo, v8, s4
	v_add_co_ci_u32_e32 v5, vcc_lo, s5, v9, vcc_lo
	v_add_co_u32 v8, vcc_lo, v4, s4
	v_add_co_ci_u32_e32 v9, vcc_lo, s5, v5, vcc_lo
	global_store_dwordx4 v[4:5], v[0:3], off
	s_clause 0x1
	buffer_load_dword v0, off, s[24:27], 0 offset:76
	buffer_load_dword v1, off, s[24:27], 0 offset:80
	s_waitcnt vmcnt(0)
	global_load_dwordx4 v[0:3], v[0:1], off offset:320
	s_waitcnt vmcnt(0) lgkmcnt(0)
	v_mul_f64 v[6:7], v[16:17], v[2:3]
	v_mul_f64 v[2:3], v[14:15], v[2:3]
	v_fma_f64 v[6:7], v[14:15], v[0:1], v[6:7]
	v_fma_f64 v[2:3], v[0:1], v[16:17], -v[2:3]
	;; [unrolled: 32-line block ×3, first 2 shown]
	v_mul_f64 v[0:1], v[6:7], s[2:3]
	v_mul_f64 v[2:3], v[2:3], s[2:3]
	global_store_dwordx4 v[8:9], v[0:3], off
	s_clause 0x1
	buffer_load_dword v0, off, s[24:27], 0 offset:108
	buffer_load_dword v1, off, s[24:27], 0 offset:112
	s_waitcnt vmcnt(0)
	global_load_dwordx4 v[0:3], v[0:1], off offset:448
	ds_read_b128 v[4:7], v238 offset:27072
	ds_read_b128 v[14:17], v238 offset:30528
	s_waitcnt vmcnt(0) lgkmcnt(1)
	v_mul_f64 v[18:19], v[6:7], v[2:3]
	v_mul_f64 v[2:3], v[4:5], v[2:3]
	v_fma_f64 v[4:5], v[4:5], v[0:1], v[18:19]
	v_fma_f64 v[2:3], v[0:1], v[6:7], -v[2:3]
	v_mul_f64 v[0:1], v[4:5], s[2:3]
	v_mul_f64 v[2:3], v[2:3], s[2:3]
	v_add_co_u32 v4, vcc_lo, v8, s4
	v_add_co_ci_u32_e32 v5, vcc_lo, s5, v9, vcc_lo
	global_store_dwordx4 v[4:5], v[0:3], off
	s_clause 0x1
	buffer_load_dword v0, off, s[24:27], 0 offset:144
	buffer_load_dword v1, off, s[24:27], 0 offset:148
	v_add_co_u32 v4, vcc_lo, v4, s4
	v_add_co_ci_u32_e32 v5, vcc_lo, s5, v5, vcc_lo
	s_waitcnt vmcnt(0)
	global_load_dwordx4 v[0:3], v[0:1], off offset:1856
	s_waitcnt vmcnt(0) lgkmcnt(0)
	v_mul_f64 v[6:7], v[16:17], v[2:3]
	v_mul_f64 v[2:3], v[14:15], v[2:3]
	v_fma_f64 v[6:7], v[14:15], v[0:1], v[6:7]
	v_fma_f64 v[2:3], v[0:1], v[16:17], -v[2:3]
	v_mul_f64 v[0:1], v[6:7], s[2:3]
	v_mul_f64 v[2:3], v[2:3], s[2:3]
	global_store_dwordx4 v[4:5], v[0:3], off
	s_clause 0x1
	buffer_load_dword v0, off, s[24:27], 0 offset:152
	buffer_load_dword v1, off, s[24:27], 0 offset:156
	v_add_co_u32 v4, vcc_lo, v4, s4
	v_add_co_ci_u32_e32 v5, vcc_lo, s5, v5, vcc_lo
	s_waitcnt vmcnt(0)
	global_load_dwordx4 v[0:3], v[0:1], off offset:1216
	s_waitcnt vmcnt(0)
	v_mul_f64 v[6:7], v[12:13], v[2:3]
	v_mul_f64 v[2:3], v[10:11], v[2:3]
	v_fma_f64 v[6:7], v[10:11], v[0:1], v[6:7]
	v_fma_f64 v[2:3], v[0:1], v[12:13], -v[2:3]
	v_mul_f64 v[0:1], v[6:7], s[2:3]
	v_mul_f64 v[2:3], v[2:3], s[2:3]
	global_store_dwordx4 v[4:5], v[0:3], off
.LBB0_15:
	s_endpgm
	.section	.rodata,"a",@progbits
	.p2align	6, 0x0
	.amdhsa_kernel bluestein_single_back_len2160_dim1_dp_op_CI_CI
		.amdhsa_group_segment_fixed_size 34560
		.amdhsa_private_segment_fixed_size 1868
		.amdhsa_kernarg_size 104
		.amdhsa_user_sgpr_count 6
		.amdhsa_user_sgpr_private_segment_buffer 1
		.amdhsa_user_sgpr_dispatch_ptr 0
		.amdhsa_user_sgpr_queue_ptr 0
		.amdhsa_user_sgpr_kernarg_segment_ptr 1
		.amdhsa_user_sgpr_dispatch_id 0
		.amdhsa_user_sgpr_flat_scratch_init 0
		.amdhsa_user_sgpr_private_segment_size 0
		.amdhsa_wavefront_size32 1
		.amdhsa_uses_dynamic_stack 0
		.amdhsa_system_sgpr_private_segment_wavefront_offset 1
		.amdhsa_system_sgpr_workgroup_id_x 1
		.amdhsa_system_sgpr_workgroup_id_y 0
		.amdhsa_system_sgpr_workgroup_id_z 0
		.amdhsa_system_sgpr_workgroup_info 0
		.amdhsa_system_vgpr_workitem_id 0
		.amdhsa_next_free_vgpr 256
		.amdhsa_next_free_sgpr 28
		.amdhsa_reserve_vcc 1
		.amdhsa_reserve_flat_scratch 0
		.amdhsa_float_round_mode_32 0
		.amdhsa_float_round_mode_16_64 0
		.amdhsa_float_denorm_mode_32 3
		.amdhsa_float_denorm_mode_16_64 3
		.amdhsa_dx10_clamp 1
		.amdhsa_ieee_mode 1
		.amdhsa_fp16_overflow 0
		.amdhsa_workgroup_processor_mode 1
		.amdhsa_memory_ordered 1
		.amdhsa_forward_progress 0
		.amdhsa_shared_vgpr_count 0
		.amdhsa_exception_fp_ieee_invalid_op 0
		.amdhsa_exception_fp_denorm_src 0
		.amdhsa_exception_fp_ieee_div_zero 0
		.amdhsa_exception_fp_ieee_overflow 0
		.amdhsa_exception_fp_ieee_underflow 0
		.amdhsa_exception_fp_ieee_inexact 0
		.amdhsa_exception_int_div_zero 0
	.end_amdhsa_kernel
	.text
.Lfunc_end0:
	.size	bluestein_single_back_len2160_dim1_dp_op_CI_CI, .Lfunc_end0-bluestein_single_back_len2160_dim1_dp_op_CI_CI
                                        ; -- End function
	.section	.AMDGPU.csdata,"",@progbits
; Kernel info:
; codeLenInByte = 55620
; NumSgprs: 30
; NumVgprs: 256
; ScratchSize: 1868
; MemoryBound: 0
; FloatMode: 240
; IeeeMode: 1
; LDSByteSize: 34560 bytes/workgroup (compile time only)
; SGPRBlocks: 3
; VGPRBlocks: 31
; NumSGPRsForWavesPerEU: 30
; NumVGPRsForWavesPerEU: 256
; Occupancy: 2
; WaveLimiterHint : 1
; COMPUTE_PGM_RSRC2:SCRATCH_EN: 1
; COMPUTE_PGM_RSRC2:USER_SGPR: 6
; COMPUTE_PGM_RSRC2:TRAP_HANDLER: 0
; COMPUTE_PGM_RSRC2:TGID_X_EN: 1
; COMPUTE_PGM_RSRC2:TGID_Y_EN: 0
; COMPUTE_PGM_RSRC2:TGID_Z_EN: 0
; COMPUTE_PGM_RSRC2:TIDIG_COMP_CNT: 0
	.text
	.p2alignl 6, 3214868480
	.fill 48, 4, 3214868480
	.type	__hip_cuid_2fd119f9929eb1ff,@object ; @__hip_cuid_2fd119f9929eb1ff
	.section	.bss,"aw",@nobits
	.globl	__hip_cuid_2fd119f9929eb1ff
__hip_cuid_2fd119f9929eb1ff:
	.byte	0                               ; 0x0
	.size	__hip_cuid_2fd119f9929eb1ff, 1

	.ident	"AMD clang version 19.0.0git (https://github.com/RadeonOpenCompute/llvm-project roc-6.4.0 25133 c7fe45cf4b819c5991fe208aaa96edf142730f1d)"
	.section	".note.GNU-stack","",@progbits
	.addrsig
	.addrsig_sym __hip_cuid_2fd119f9929eb1ff
	.amdgpu_metadata
---
amdhsa.kernels:
  - .args:
      - .actual_access:  read_only
        .address_space:  global
        .offset:         0
        .size:           8
        .value_kind:     global_buffer
      - .actual_access:  read_only
        .address_space:  global
        .offset:         8
        .size:           8
        .value_kind:     global_buffer
      - .actual_access:  read_only
        .address_space:  global
        .offset:         16
        .size:           8
        .value_kind:     global_buffer
      - .actual_access:  read_only
        .address_space:  global
        .offset:         24
        .size:           8
        .value_kind:     global_buffer
      - .actual_access:  read_only
        .address_space:  global
        .offset:         32
        .size:           8
        .value_kind:     global_buffer
      - .offset:         40
        .size:           8
        .value_kind:     by_value
      - .address_space:  global
        .offset:         48
        .size:           8
        .value_kind:     global_buffer
      - .address_space:  global
        .offset:         56
        .size:           8
        .value_kind:     global_buffer
      - .address_space:  global
        .offset:         64
        .size:           8
        .value_kind:     global_buffer
      - .address_space:  global
        .offset:         72
        .size:           8
        .value_kind:     global_buffer
      - .offset:         80
        .size:           4
        .value_kind:     by_value
      - .address_space:  global
        .offset:         88
        .size:           8
        .value_kind:     global_buffer
      - .address_space:  global
        .offset:         96
        .size:           8
        .value_kind:     global_buffer
    .group_segment_fixed_size: 34560
    .kernarg_segment_align: 8
    .kernarg_segment_size: 104
    .language:       OpenCL C
    .language_version:
      - 2
      - 0
    .max_flat_workgroup_size: 60
    .name:           bluestein_single_back_len2160_dim1_dp_op_CI_CI
    .private_segment_fixed_size: 1868
    .sgpr_count:     30
    .sgpr_spill_count: 0
    .symbol:         bluestein_single_back_len2160_dim1_dp_op_CI_CI.kd
    .uniform_work_group_size: 1
    .uses_dynamic_stack: false
    .vgpr_count:     256
    .vgpr_spill_count: 482
    .wavefront_size: 32
    .workgroup_processor_mode: 1
amdhsa.target:   amdgcn-amd-amdhsa--gfx1030
amdhsa.version:
  - 1
  - 2
...

	.end_amdgpu_metadata
